;; amdgpu-corpus repo=ROCm/rocFFT kind=compiled arch=gfx1100 opt=O3
	.text
	.amdgcn_target "amdgcn-amd-amdhsa--gfx1100"
	.amdhsa_code_object_version 6
	.protected	bluestein_single_back_len765_dim1_dp_op_CI_CI ; -- Begin function bluestein_single_back_len765_dim1_dp_op_CI_CI
	.globl	bluestein_single_back_len765_dim1_dp_op_CI_CI
	.p2align	8
	.type	bluestein_single_back_len765_dim1_dp_op_CI_CI,@function
bluestein_single_back_len765_dim1_dp_op_CI_CI: ; @bluestein_single_back_len765_dim1_dp_op_CI_CI
; %bb.0:
	s_load_b128 s[4:7], s[0:1], 0x28
	v_mul_u32_u24_e32 v1, 0x506, v0
	s_mov_b32 s2, exec_lo
	s_delay_alu instid0(VALU_DEP_1) | instskip(NEXT) | instid1(VALU_DEP_1)
	v_lshrrev_b32_e32 v1, 16, v1
	v_mad_u64_u32 v[250:251], null, s15, 5, v[1:2]
	v_mov_b32_e32 v251, 0
                                        ; kill: def $vgpr2 killed $sgpr0 killed $exec
	s_waitcnt lgkmcnt(0)
	s_delay_alu instid0(VALU_DEP_1)
	v_cmpx_gt_u64_e64 s[4:5], v[250:251]
	s_cbranch_execz .LBB0_15
; %bb.1:
	v_mul_hi_u32 v2, 0xcccccccd, v250
	s_clause 0x1
	s_load_b64 s[12:13], s[0:1], 0x0
	s_load_b64 s[14:15], s[0:1], 0x38
	v_mul_lo_u16 v1, v1, 51
	s_delay_alu instid0(VALU_DEP_1) | instskip(NEXT) | instid1(VALU_DEP_3)
	v_sub_nc_u16 v0, v0, v1
	v_lshrrev_b32_e32 v2, 2, v2
	s_delay_alu instid0(VALU_DEP_2) | instskip(NEXT) | instid1(VALU_DEP_2)
	v_cmp_gt_u16_e32 vcc_lo, 45, v0
	v_lshl_add_u32 v2, v2, 2, v2
	s_delay_alu instid0(VALU_DEP_1) | instskip(SKIP_1) | instid1(VALU_DEP_2)
	v_sub_nc_u32_e32 v1, v250, v2
	v_and_b32_e32 v2, 0xffff, v0
	v_mul_u32_u24_e32 v1, 0x2fd, v1
	s_delay_alu instid0(VALU_DEP_2)
	v_lshlrev_b32_e32 v249, 4, v2
	scratch_store_b32 off, v2, off          ; 4-byte Folded Spill
	v_lshlrev_b32_e32 v0, 4, v1
	s_clause 0x1
	scratch_store_b32 off, v1, off offset:4
	scratch_store_b32 off, v0, off offset:8
	s_and_saveexec_b32 s3, vcc_lo
	s_cbranch_execz .LBB0_3
; %bb.2:
	s_load_b64 s[4:5], s[0:1], 0x18
	s_waitcnt lgkmcnt(0)
	v_add_co_u32 v27, s2, s12, v249
	s_delay_alu instid0(VALU_DEP_1) | instskip(NEXT) | instid1(VALU_DEP_2)
	v_add_co_ci_u32_e64 v28, null, s13, 0, s2
	v_add_co_u32 v44, s2, 0x1000, v27
	s_delay_alu instid0(VALU_DEP_1) | instskip(SKIP_1) | instid1(VALU_DEP_1)
	v_add_co_ci_u32_e64 v45, s2, 0, v28, s2
	v_add_co_u32 v128, s2, 0x2000, v27
	v_add_co_ci_u32_e64 v129, s2, 0, v28, s2
	s_load_b128 s[8:11], s[4:5], 0x0
	s_clause 0x1
	global_load_b128 v[0:3], v249, s[12:13]
	global_load_b128 v[4:7], v249, s[12:13] offset:720
	scratch_load_b32 v172, off, off         ; 4-byte Folded Reload
	s_clause 0x3
	global_load_b128 v[8:11], v249, s[12:13] offset:1440
	global_load_b128 v[12:15], v249, s[12:13] offset:2160
	;; [unrolled: 1-line block ×4, first 2 shown]
	s_waitcnt lgkmcnt(0)
	v_mad_u64_u32 v[32:33], null, s10, v250, 0
	s_mul_i32 s4, s9, 0x2d0
	s_mul_hi_u32 s5, s8, 0x2d0
	s_delay_alu instid0(SALU_CYCLE_1) | instskip(NEXT) | instid1(VALU_DEP_1)
	s_add_i32 s5, s5, s4
	v_mov_b32_e32 v24, v33
	s_delay_alu instid0(VALU_DEP_1) | instskip(NEXT) | instid1(VALU_DEP_1)
	v_mad_u64_u32 v[25:26], null, s11, v250, v[24:25]
	v_mov_b32_e32 v33, v25
	s_delay_alu instid0(VALU_DEP_1) | instskip(NEXT) | instid1(VALU_DEP_1)
	v_lshlrev_b64 v[42:43], 4, v[32:33]
	v_add_co_u32 v42, s2, s6, v42
	s_delay_alu instid0(VALU_DEP_1) | instskip(SKIP_3) | instid1(VALU_DEP_1)
	v_add_co_ci_u32_e64 v43, s2, s7, v43, s2
	s_mul_i32 s6, s8, 0x2d0
	s_waitcnt vmcnt(4)
	v_mad_u64_u32 v[40:41], null, s8, v172, 0
	v_mov_b32_e32 v24, v41
	s_delay_alu instid0(VALU_DEP_1)
	v_mad_u64_u32 v[34:35], null, s9, v172, v[24:25]
	s_clause 0x1
	global_load_b128 v[24:27], v[44:45], off offset:224
	global_load_b128 v[28:31], v[44:45], off offset:944
	v_mov_b32_e32 v41, v34
	s_clause 0x1
	global_load_b128 v[32:35], v[44:45], off offset:1664
	global_load_b128 v[36:39], v[44:45], off offset:2384
	v_lshlrev_b64 v[40:41], 4, v[40:41]
	s_delay_alu instid0(VALU_DEP_1) | instskip(NEXT) | instid1(VALU_DEP_1)
	v_add_co_u32 v56, s2, v42, v40
	v_add_co_ci_u32_e64 v57, s2, v43, v41, s2
	s_clause 0x1
	global_load_b128 v[40:43], v[44:45], off offset:3104
	global_load_b128 v[44:47], v[44:45], off offset:3824
	v_add_co_u32 v60, s2, v56, s6
	s_delay_alu instid0(VALU_DEP_1) | instskip(SKIP_4) | instid1(VALU_DEP_1)
	v_add_co_ci_u32_e64 v61, s2, s5, v57, s2
	s_clause 0x1
	global_load_b128 v[48:51], v[128:129], off offset:448
	global_load_b128 v[52:55], v[128:129], off offset:1168
	v_add_co_u32 v64, s2, v60, s6
	v_add_co_ci_u32_e64 v65, s2, s5, v61, s2
	s_clause 0x1
	global_load_b128 v[56:59], v[56:57], off
	global_load_b128 v[60:63], v[60:61], off
	v_add_co_u32 v68, s2, v64, s6
	s_delay_alu instid0(VALU_DEP_1) | instskip(NEXT) | instid1(VALU_DEP_2)
	v_add_co_ci_u32_e64 v69, s2, s5, v65, s2
	v_add_co_u32 v72, s2, v68, s6
	s_delay_alu instid0(VALU_DEP_1) | instskip(SKIP_4) | instid1(VALU_DEP_1)
	v_add_co_ci_u32_e64 v73, s2, s5, v69, s2
	s_clause 0x1
	global_load_b128 v[64:67], v[64:65], off
	global_load_b128 v[68:71], v[68:69], off
	v_add_co_u32 v76, s2, v72, s6
	v_add_co_ci_u32_e64 v77, s2, s5, v73, s2
	global_load_b128 v[72:75], v[72:73], off
	v_add_co_u32 v80, s2, v76, s6
	s_delay_alu instid0(VALU_DEP_1) | instskip(SKIP_2) | instid1(VALU_DEP_1)
	v_add_co_ci_u32_e64 v81, s2, s5, v77, s2
	global_load_b128 v[76:79], v[76:77], off
	v_add_co_u32 v84, s2, v80, s6
	v_add_co_ci_u32_e64 v85, s2, s5, v81, s2
	global_load_b128 v[80:83], v[80:81], off
	v_add_co_u32 v88, s2, v84, s6
	s_delay_alu instid0(VALU_DEP_1) | instskip(SKIP_2) | instid1(VALU_DEP_1)
	v_add_co_ci_u32_e64 v89, s2, s5, v85, s2
	;; [unrolled: 7-line block ×5, first 2 shown]
	global_load_b128 v[108:111], v[108:109], off
	v_add_co_u32 v124, s2, v112, s6
	v_add_co_ci_u32_e64 v125, s2, s5, v113, s2
	global_load_b128 v[112:115], v[112:113], off
	v_add_co_u32 v132, s2, v124, s6
	s_delay_alu instid0(VALU_DEP_1)
	v_add_co_ci_u32_e64 v133, s2, s5, v125, s2
	s_clause 0x1
	global_load_b128 v[116:119], v[128:129], off offset:1888
	global_load_b128 v[120:123], v[128:129], off offset:2608
	global_load_b128 v[124:127], v[124:125], off
	global_load_b128 v[128:131], v[128:129], off offset:3328
	global_load_b128 v[132:135], v[132:133], off
	s_waitcnt vmcnt(19)
	v_mul_f64 v[136:137], v[58:59], v[2:3]
	v_mul_f64 v[2:3], v[56:57], v[2:3]
	s_waitcnt vmcnt(18)
	v_mul_f64 v[138:139], v[62:63], v[6:7]
	v_mul_f64 v[6:7], v[60:61], v[6:7]
	s_waitcnt vmcnt(17)
	v_mul_f64 v[140:141], v[66:67], v[10:11]
	v_mul_f64 v[10:11], v[64:65], v[10:11]
	s_waitcnt vmcnt(16)
	v_mul_f64 v[142:143], v[70:71], v[14:15]
	v_mul_f64 v[14:15], v[68:69], v[14:15]
	s_waitcnt vmcnt(15)
	v_mul_f64 v[144:145], v[74:75], v[18:19]
	v_mul_f64 v[18:19], v[72:73], v[18:19]
	s_waitcnt vmcnt(14)
	v_mul_f64 v[146:147], v[78:79], v[22:23]
	v_mul_f64 v[22:23], v[76:77], v[22:23]
	s_waitcnt vmcnt(13)
	v_mul_f64 v[148:149], v[82:83], v[26:27]
	v_mul_f64 v[26:27], v[80:81], v[26:27]
	s_waitcnt vmcnt(12)
	v_mul_f64 v[150:151], v[86:87], v[30:31]
	v_mul_f64 v[30:31], v[84:85], v[30:31]
	s_waitcnt vmcnt(11)
	v_mul_f64 v[152:153], v[90:91], v[34:35]
	v_mul_f64 v[34:35], v[88:89], v[34:35]
	s_waitcnt vmcnt(10)
	v_mul_f64 v[154:155], v[94:95], v[38:39]
	v_mul_f64 v[38:39], v[92:93], v[38:39]
	s_waitcnt vmcnt(9)
	v_mul_f64 v[156:157], v[98:99], v[42:43]
	v_mul_f64 v[42:43], v[96:97], v[42:43]
	s_waitcnt vmcnt(8)
	v_mul_f64 v[158:159], v[102:103], v[46:47]
	v_mul_f64 v[46:47], v[100:101], v[46:47]
	s_waitcnt vmcnt(7)
	v_mul_f64 v[160:161], v[106:107], v[50:51]
	v_mul_f64 v[50:51], v[104:105], v[50:51]
	s_waitcnt vmcnt(6)
	v_mul_f64 v[162:163], v[110:111], v[54:55]
	v_mul_f64 v[164:165], v[108:109], v[54:55]
	v_fma_f64 v[54:55], v[56:57], v[0:1], v[136:137]
	v_fma_f64 v[56:57], v[58:59], v[0:1], -v[2:3]
	v_fma_f64 v[0:1], v[60:61], v[4:5], v[138:139]
	v_fma_f64 v[2:3], v[62:63], v[4:5], -v[6:7]
	;; [unrolled: 2-line block ×10, first 2 shown]
	s_waitcnt vmcnt(4)
	v_mul_f64 v[166:167], v[114:115], v[118:119]
	v_fma_f64 v[36:37], v[96:97], v[40:41], v[156:157]
	v_fma_f64 v[38:39], v[98:99], v[40:41], -v[42:43]
	v_mul_f64 v[118:119], v[112:113], v[118:119]
	s_waitcnt vmcnt(2)
	v_mul_f64 v[168:169], v[126:127], v[122:123]
	v_mul_f64 v[122:123], v[124:125], v[122:123]
	v_fma_f64 v[40:41], v[100:101], v[44:45], v[158:159]
	v_fma_f64 v[42:43], v[102:103], v[44:45], -v[46:47]
	s_waitcnt vmcnt(0)
	v_mul_f64 v[170:171], v[134:135], v[130:131]
	v_mul_f64 v[130:131], v[132:133], v[130:131]
	v_fma_f64 v[44:45], v[104:105], v[48:49], v[160:161]
	v_fma_f64 v[46:47], v[106:107], v[48:49], -v[50:51]
	v_fma_f64 v[48:49], v[108:109], v[52:53], v[162:163]
	v_fma_f64 v[50:51], v[110:111], v[52:53], -v[164:165]
	scratch_load_b32 v53, off, off offset:8 ; 4-byte Folded Reload
	v_fma_f64 v[58:59], v[112:113], v[116:117], v[166:167]
	v_fma_f64 v[60:61], v[114:115], v[116:117], -v[118:119]
	v_fma_f64 v[62:63], v[124:125], v[120:121], v[168:169]
	v_fma_f64 v[64:65], v[126:127], v[120:121], -v[122:123]
	v_fma_f64 v[66:67], v[132:133], v[128:129], v[170:171]
	v_fma_f64 v[68:69], v[134:135], v[128:129], -v[130:131]
	s_waitcnt vmcnt(0)
	v_lshl_add_u32 v52, v172, 4, v53
	v_add_nc_u32_e32 v53, v53, v249
	ds_store_b128 v52, v[54:57]
	ds_store_b128 v53, v[0:3] offset:720
	ds_store_b128 v53, v[4:7] offset:1440
	;; [unrolled: 1-line block ×16, first 2 shown]
.LBB0_3:
	s_or_b32 exec_lo, exec_lo, s3
	s_clause 0x1
	s_load_b64 s[4:5], s[0:1], 0x20
	s_load_b64 s[2:3], s[0:1], 0x8
	s_waitcnt lgkmcnt(0)
	s_waitcnt_vscnt null, 0x0
	s_barrier
	buffer_gl0_inv
                                        ; implicit-def: $vgpr8_vgpr9
                                        ; implicit-def: $vgpr28_vgpr29
                                        ; implicit-def: $vgpr36_vgpr37
                                        ; implicit-def: $vgpr40_vgpr41
                                        ; implicit-def: $vgpr44_vgpr45
                                        ; implicit-def: $vgpr52_vgpr53
                                        ; implicit-def: $vgpr56_vgpr57
                                        ; implicit-def: $vgpr64_vgpr65
                                        ; implicit-def: $vgpr68_vgpr69
                                        ; implicit-def: $vgpr72_vgpr73
                                        ; implicit-def: $vgpr60_vgpr61
                                        ; implicit-def: $vgpr48_vgpr49
                                        ; implicit-def: $vgpr32_vgpr33
                                        ; implicit-def: $vgpr24_vgpr25
                                        ; implicit-def: $vgpr20_vgpr21
                                        ; implicit-def: $vgpr16_vgpr17
                                        ; implicit-def: $vgpr12_vgpr13
	s_and_saveexec_b32 s0, vcc_lo
	s_cbranch_execz .LBB0_5
; %bb.4:
	scratch_load_b32 v0, off, off offset:4  ; 4-byte Folded Reload
	s_waitcnt vmcnt(0)
	v_lshl_add_u32 v0, v0, 4, v249
	ds_load_b128 v[8:11], v0
	ds_load_b128 v[28:31], v0 offset:720
	ds_load_b128 v[36:39], v0 offset:1440
	;; [unrolled: 1-line block ×16, first 2 shown]
.LBB0_5:
	s_or_b32 exec_lo, exec_lo, s0
	s_waitcnt lgkmcnt(0)
	v_add_f64 v[162:163], v[30:31], -v[14:15]
	v_add_f64 v[168:169], v[28:29], -v[12:13]
	s_mov_b32 s0, 0x5d8e7cdc
	s_mov_b32 s8, 0x2a9d6da3
	s_mov_b32 s1, 0xbfd71e95
	s_mov_b32 s9, 0xbfe58eea
	v_add_f64 v[160:161], v[28:29], v[12:13]
	v_add_f64 v[166:167], v[30:31], v[14:15]
	v_add_f64 v[90:91], v[38:39], -v[18:19]
	v_add_f64 v[76:77], v[36:37], -v[16:17]
	s_mov_b32 s6, 0x370991
	s_mov_b32 s10, 0x75d4884
	s_mov_b32 s20, 0xeb564b22
	s_mov_b32 s7, 0x3fedd6d0
	s_mov_b32 s11, 0x3fe7a5f6
	s_mov_b32 s21, 0xbfefdd0d
	v_add_f64 v[78:79], v[36:37], v[16:17]
	v_add_f64 v[94:95], v[38:39], v[18:19]
	v_add_f64 v[96:97], v[42:43], -v[22:23]
	v_add_f64 v[80:81], v[40:41], -v[20:21]
	s_mov_b32 s16, 0x3259b75e
	s_mov_b32 s26, 0x7c9e640b
	;; [unrolled: 10-line block ×3, first 2 shown]
	s_mov_b32 s24, 0xacd6c6b4
	s_mov_b32 s29, 0x3fdc86fa
	;; [unrolled: 1-line block ×4, first 2 shown]
	v_add_f64 v[86:87], v[44:45], v[24:25]
	v_add_f64 v[110:111], v[46:47], v[26:27]
	v_mul_f64 v[176:177], v[162:163], s[0:1]
	v_mul_f64 v[184:185], v[168:169], s[0:1]
	;; [unrolled: 1-line block ×4, first 2 shown]
	v_add_f64 v[88:89], v[52:53], -v[32:33]
	v_add_f64 v[114:115], v[54:55], -v[34:35]
	s_mov_b32 s30, 0x7faef3
	s_mov_b32 s34, 0x923c349f
	v_mul_f64 v[136:137], v[90:91], s[8:9]
	v_mul_f64 v[138:139], v[76:77], s[8:9]
	;; [unrolled: 1-line block ×4, first 2 shown]
	s_mov_b32 s36, 0x4363dd80
	s_mov_b32 s31, 0xbfef7484
	;; [unrolled: 1-line block ×4, first 2 shown]
	v_add_f64 v[118:119], v[54:55], v[34:35]
	v_add_f64 v[120:121], v[58:59], -v[50:51]
	v_mul_f64 v[144:145], v[96:97], s[26:27]
	v_mul_f64 v[148:149], v[80:81], s[26:27]
	v_mul_f64 v[140:141], v[96:97], s[18:19]
	v_mul_f64 v[142:143], v[80:81], s[18:19]
	s_mov_b32 s40, 0xc61f0d01
	s_mov_b32 s38, 0x910ea3b9
	;; [unrolled: 1-line block ×6, first 2 shown]
	v_mul_f64 v[158:159], v[84:85], s[20:21]
	v_mul_f64 v[152:153], v[106:107], s[20:21]
	;; [unrolled: 1-line block ×4, first 2 shown]
	v_add_f64 v[124:125], v[66:67], -v[62:63]
	s_mov_b32 s47, 0xbfe0d888
	s_mov_b32 s43, 0x3feca52d
	;; [unrolled: 1-line block ×5, first 2 shown]
	v_fma_f64 v[0:1], v[160:161], s[6:7], v[176:177]
	v_fma_f64 v[2:3], v[166:167], s[6:7], -v[184:185]
	v_fma_f64 v[4:5], v[160:161], s[10:11], v[186:187]
	v_fma_f64 v[6:7], v[166:167], s[10:11], -v[193:194]
	v_mul_f64 v[174:175], v[88:89], s[34:35]
	v_mul_f64 v[172:173], v[114:115], s[34:35]
	;; [unrolled: 1-line block ×4, first 2 shown]
	v_fma_f64 v[92:93], v[78:79], s[10:11], v[136:137]
	v_fma_f64 v[98:99], v[94:95], s[10:11], -v[138:139]
	v_fma_f64 v[102:103], v[78:79], s[16:17], v[126:127]
	v_fma_f64 v[104:105], v[94:95], s[16:17], -v[130:131]
	s_mov_b32 s44, s0
	s_barrier
	buffer_gl0_inv
	v_mul_f64 v[182:183], v[120:121], s[18:19]
	v_fma_f64 v[108:109], v[82:83], s[28:29], v[144:145]
	v_fma_f64 v[112:113], v[100:101], s[28:29], -v[148:149]
	v_fma_f64 v[116:117], v[82:83], s[22:23], v[140:141]
	v_fma_f64 v[122:123], v[100:101], s[22:23], -v[142:143]
	v_mul_f64 v[164:165], v[120:121], s[48:49]
	v_fma_f64 v[132:133], v[110:111], s[16:17], -v[158:159]
	v_fma_f64 v[128:129], v[86:87], s[16:17], v[152:153]
	v_fma_f64 v[134:135], v[86:87], s[30:31], v[146:147]
	v_fma_f64 v[178:179], v[110:111], s[30:31], -v[150:151]
	v_mul_f64 v[197:198], v[124:125], s[46:47]
	v_add_f64 v[0:1], v[8:9], v[0:1]
	v_add_f64 v[2:3], v[10:11], v[2:3]
	;; [unrolled: 1-line block ×4, first 2 shown]
	v_fma_f64 v[190:191], v[118:119], s[40:41], -v[174:175]
	v_fma_f64 v[201:202], v[118:119], s[38:39], -v[156:157]
	v_add_f64 v[0:1], v[92:93], v[0:1]
	v_add_f64 v[2:3], v[98:99], v[2:3]
	;; [unrolled: 1-line block ×5, first 2 shown]
	v_add_f64 v[98:99], v[56:57], -v[48:49]
	v_add_f64 v[102:103], v[56:57], v[48:49]
	v_add_f64 v[104:105], v[64:65], -v[60:61]
	v_add_f64 v[0:1], v[108:109], v[0:1]
	v_add_f64 v[2:3], v[112:113], v[2:3]
	;; [unrolled: 1-line block ×5, first 2 shown]
	v_mul_f64 v[188:189], v[98:99], s[18:19]
	v_mul_f64 v[170:171], v[98:99], s[48:49]
	v_fma_f64 v[116:117], v[92:93], s[40:41], v[172:173]
	v_fma_f64 v[195:196], v[92:93], s[38:39], v[154:155]
	v_add_f64 v[108:109], v[64:65], v[60:61]
	v_add_f64 v[112:113], v[68:69], -v[72:73]
	v_mul_f64 v[199:200], v[104:105], s[46:47]
	v_mul_f64 v[180:181], v[104:105], s[42:43]
	v_fma_f64 v[205:206], v[102:103], s[22:23], v[182:183]
	v_fma_f64 v[209:210], v[102:103], s[40:41], v[164:165]
	v_add_f64 v[0:1], v[128:129], v[0:1]
	v_add_f64 v[2:3], v[132:133], v[2:3]
	;; [unrolled: 1-line block ×5, first 2 shown]
	v_add_f64 v[132:133], v[70:71], -v[74:75]
	v_mul_f64 v[178:179], v[124:125], s[42:43]
	v_fma_f64 v[207:208], v[122:123], s[22:23], -v[188:189]
	v_fma_f64 v[211:212], v[122:123], s[40:41], -v[170:171]
	v_add_f64 v[134:135], v[70:71], v[74:75]
	v_mul_f64 v[203:204], v[112:113], s[24:25]
	v_fma_f64 v[213:214], v[108:109], s[38:39], v[197:198]
	v_add_f64 v[0:1], v[116:117], v[0:1]
	v_add_f64 v[2:3], v[190:191], v[2:3]
	;; [unrolled: 1-line block ×5, first 2 shown]
	v_mul_f64 v[201:202], v[132:133], s[24:25]
	v_mul_f64 v[190:191], v[132:133], s[44:45]
	;; [unrolled: 1-line block ×3, first 2 shown]
	v_fma_f64 v[215:216], v[128:129], s[38:39], -v[199:200]
	v_fma_f64 v[217:218], v[108:109], s[28:29], v[178:179]
	v_fma_f64 v[219:220], v[128:129], s[28:29], -v[180:181]
	v_add_f64 v[0:1], v[205:206], v[0:1]
	v_add_f64 v[2:3], v[207:208], v[2:3]
	;; [unrolled: 1-line block ×4, first 2 shown]
	v_fma_f64 v[207:208], v[134:135], s[30:31], -v[203:204]
	v_fma_f64 v[205:206], v[116:117], s[30:31], v[201:202]
	v_fma_f64 v[209:210], v[116:117], s[6:7], v[190:191]
	v_fma_f64 v[211:212], v[134:135], s[6:7], -v[195:196]
	v_add_f64 v[0:1], v[213:214], v[0:1]
	v_add_f64 v[2:3], v[215:216], v[2:3]
	;; [unrolled: 1-line block ×4, first 2 shown]
	s_delay_alu instid0(VALU_DEP_4) | instskip(NEXT) | instid1(VALU_DEP_4)
	v_add_f64 v[226:227], v[205:206], v[0:1]
	v_add_f64 v[228:229], v[207:208], v[2:3]
	s_delay_alu instid0(VALU_DEP_4) | instskip(NEXT) | instid1(VALU_DEP_4)
	v_add_f64 v[233:234], v[209:210], v[4:5]
	v_add_f64 v[235:236], v[211:212], v[6:7]
	s_and_saveexec_b32 s33, vcc_lo
	s_cbranch_execz .LBB0_7
; %bb.6:
	v_add_f64 v[0:1], v[10:11], v[30:31]
	v_add_f64 v[2:3], v[8:9], v[28:29]
	v_mul_f64 v[4:5], v[166:167], s[38:39]
	v_mul_f64 v[28:29], v[166:167], s[28:29]
	s_mov_b32 s53, 0x3fe9895b
	s_mov_b32 s52, s18
	;; [unrolled: 1-line block ×8, first 2 shown]
	s_delay_alu instid0(VALU_DEP_4) | instskip(NEXT) | instid1(VALU_DEP_4)
	v_add_f64 v[0:1], v[0:1], v[38:39]
	v_add_f64 v[2:3], v[2:3], v[36:37]
	s_delay_alu instid0(VALU_DEP_4)
	v_fma_f64 v[6:7], v[168:169], s[36:37], v[4:5]
	v_fma_f64 v[4:5], v[168:169], s[46:47], v[4:5]
	v_mul_f64 v[38:39], v[162:163], s[24:25]
	v_fma_f64 v[30:31], v[168:169], s[42:43], v[28:29]
	v_mul_f64 v[36:37], v[166:167], s[6:7]
	v_fma_f64 v[28:29], v[168:169], s[26:27], v[28:29]
	v_add_f64 v[0:1], v[0:1], v[42:43]
	v_add_f64 v[2:3], v[2:3], v[40:41]
	v_mul_f64 v[40:41], v[162:163], s[46:47]
	v_mul_f64 v[42:43], v[162:163], s[18:19]
	v_add_f64 v[6:7], v[10:11], v[6:7]
	v_add_f64 v[36:37], v[184:185], v[36:37]
	;; [unrolled: 1-line block ×3, first 2 shown]
	v_mul_f64 v[184:185], v[134:135], s[16:17]
	v_add_f64 v[0:1], v[0:1], v[46:47]
	v_add_f64 v[2:3], v[2:3], v[44:45]
	v_mul_f64 v[44:45], v[162:163], s[34:35]
	v_mul_f64 v[46:47], v[162:163], s[20:21]
	s_delay_alu instid0(VALU_DEP_4) | instskip(NEXT) | instid1(VALU_DEP_4)
	v_add_f64 v[0:1], v[0:1], v[54:55]
	v_add_f64 v[2:3], v[2:3], v[52:53]
	v_fma_f64 v[52:53], v[160:161], s[38:39], v[40:41]
	v_fma_f64 v[40:41], v[160:161], s[38:39], -v[40:41]
	v_fma_f64 v[54:55], v[160:161], s[22:23], v[42:43]
	v_fma_f64 v[42:43], v[160:161], s[22:23], -v[42:43]
	v_add_f64 v[0:1], v[0:1], v[58:59]
	v_add_f64 v[2:3], v[2:3], v[56:57]
	v_fma_f64 v[56:57], v[160:161], s[40:41], v[44:45]
	v_fma_f64 v[44:45], v[160:161], s[40:41], -v[44:45]
	v_fma_f64 v[58:59], v[160:161], s[16:17], v[46:47]
	v_fma_f64 v[46:47], v[160:161], s[16:17], -v[46:47]
	v_add_f64 v[52:53], v[8:9], v[52:53]
	v_add_f64 v[40:41], v[8:9], v[40:41]
	;; [unrolled: 1-line block ×7, first 2 shown]
	v_mul_f64 v[4:5], v[94:95], s[6:7]
	v_add_f64 v[56:57], v[8:9], v[56:57]
	v_add_f64 v[44:45], v[8:9], v[44:45]
	;; [unrolled: 1-line block ×6, first 2 shown]
	s_delay_alu instid0(VALU_DEP_2) | instskip(NEXT) | instid1(VALU_DEP_2)
	v_add_f64 v[0:1], v[0:1], v[74:75]
	v_add_f64 v[2:3], v[2:3], v[72:73]
	s_delay_alu instid0(VALU_DEP_2) | instskip(NEXT) | instid1(VALU_DEP_2)
	v_add_f64 v[0:1], v[0:1], v[62:63]
	v_add_f64 v[2:3], v[2:3], v[60:61]
	v_mul_f64 v[62:63], v[160:161], s[6:7]
	s_delay_alu instid0(VALU_DEP_3) | instskip(NEXT) | instid1(VALU_DEP_3)
	v_add_f64 v[0:1], v[0:1], v[50:51]
	v_add_f64 v[2:3], v[2:3], v[48:49]
	v_mul_f64 v[48:49], v[162:163], s[26:27]
	v_fma_f64 v[50:51], v[160:161], s[30:31], v[38:39]
	v_fma_f64 v[38:39], v[160:161], s[30:31], -v[38:39]
	v_add_f64 v[62:63], v[62:63], -v[176:177]
	v_add_f64 v[162:163], v[10:11], v[30:31]
	v_mul_f64 v[176:177], v[124:125], s[34:35]
	v_add_f64 v[0:1], v[0:1], v[34:35]
	v_add_f64 v[2:3], v[2:3], v[32:33]
	v_mul_f64 v[34:35], v[160:161], s[10:11]
	v_mul_f64 v[32:33], v[166:167], s[10:11]
	v_fma_f64 v[60:61], v[160:161], s[28:29], v[48:49]
	v_fma_f64 v[48:49], v[160:161], s[28:29], -v[48:49]
	v_add_f64 v[50:51], v[8:9], v[50:51]
	v_add_f64 v[38:39], v[8:9], v[38:39]
	;; [unrolled: 1-line block ×4, first 2 shown]
	v_mul_f64 v[24:25], v[166:167], s[16:17]
	v_add_f64 v[34:35], v[34:35], -v[186:187]
	v_add_f64 v[32:33], v[193:194], v[32:33]
	v_add_f64 v[60:61], v[8:9], v[60:61]
	;; [unrolled: 1-line block ×3, first 2 shown]
	v_mul_f64 v[48:49], v[118:119], s[22:23]
	v_mul_f64 v[192:193], v[114:115], s[24:25]
	v_add_f64 v[0:1], v[0:1], v[22:23]
	v_add_f64 v[2:3], v[2:3], v[20:21]
	v_mul_f64 v[20:21], v[166:167], s[40:41]
	v_fma_f64 v[26:27], v[168:169], s[50:51], v[24:25]
	v_fma_f64 v[24:25], v[168:169], s[20:21], v[24:25]
	v_add_f64 v[0:1], v[0:1], v[18:19]
	v_add_f64 v[2:3], v[2:3], v[16:17]
	v_mul_f64 v[16:17], v[166:167], s[22:23]
	v_fma_f64 v[22:23], v[168:169], s[48:49], v[20:21]
	v_fma_f64 v[20:21], v[168:169], s[34:35], v[20:21]
	v_add_f64 v[74:75], v[10:11], v[26:27]
	v_add_f64 v[26:27], v[8:9], v[34:35]
	;; [unrolled: 1-line block ×4, first 2 shown]
	v_mul_f64 v[32:33], v[96:97], s[46:47]
	v_mul_f64 v[34:35], v[110:111], s[10:11]
	v_add_f64 v[14:15], v[0:1], v[14:15]
	v_mul_f64 v[0:1], v[166:167], s[30:31]
	v_add_f64 v[12:13], v[2:3], v[12:13]
	v_fma_f64 v[18:19], v[168:169], s[52:53], v[16:17]
	v_fma_f64 v[16:17], v[168:169], s[18:19], v[16:17]
	v_add_f64 v[70:71], v[10:11], v[22:23]
	v_add_f64 v[22:23], v[8:9], v[62:63]
	v_fma_f64 v[8:9], v[76:77], s[0:1], v[4:5]
	v_add_f64 v[72:73], v[10:11], v[20:21]
	v_add_f64 v[20:21], v[10:11], v[36:37]
	v_fma_f64 v[4:5], v[76:77], s[44:45], v[4:5]
	v_mul_f64 v[36:37], v[106:107], s[56:57]
	v_mul_f64 v[62:63], v[122:123], s[28:29]
	;; [unrolled: 1-line block ×3, first 2 shown]
	v_fma_f64 v[2:3], v[168:169], s[54:55], v[0:1]
	v_fma_f64 v[0:1], v[168:169], s[24:25], v[0:1]
	v_add_f64 v[66:67], v[10:11], v[18:19]
	v_add_f64 v[68:69], v[10:11], v[16:17]
	v_mul_f64 v[16:17], v[90:91], s[44:45]
	v_mul_f64 v[18:19], v[100:101], s[38:39]
	;; [unrolled: 1-line block ×3, first 2 shown]
	v_add_f64 v[2:3], v[10:11], v[2:3]
	v_add_f64 v[0:1], v[10:11], v[0:1]
	s_delay_alu instid0(VALU_DEP_4) | instskip(NEXT) | instid1(VALU_DEP_3)
	v_fma_f64 v[10:11], v[80:81], s[36:37], v[18:19]
	v_add_f64 v[2:3], v[8:9], v[2:3]
	v_fma_f64 v[8:9], v[78:79], s[6:7], v[16:17]
	s_delay_alu instid0(VALU_DEP_4)
	v_add_f64 v[0:1], v[4:5], v[0:1]
	v_fma_f64 v[4:5], v[78:79], s[6:7], -v[16:17]
	v_fma_f64 v[16:17], v[80:81], s[46:47], v[18:19]
	v_add_f64 v[2:3], v[10:11], v[2:3]
	v_add_f64 v[8:9], v[8:9], v[50:51]
	v_fma_f64 v[10:11], v[82:83], s[38:39], v[32:33]
	v_add_f64 v[4:5], v[4:5], v[38:39]
	v_add_f64 v[0:1], v[16:17], v[0:1]
	v_fma_f64 v[16:17], v[82:83], s[38:39], -v[32:33]
	v_mul_f64 v[50:51], v[114:115], s[18:19]
	v_mul_f64 v[32:33], v[100:101], s[16:17]
	v_add_f64 v[8:9], v[10:11], v[8:9]
	v_fma_f64 v[10:11], v[84:85], s[8:9], v[34:35]
	v_add_f64 v[4:5], v[16:17], v[4:5]
	v_fma_f64 v[16:17], v[84:85], s[56:57], v[34:35]
	v_fma_f64 v[34:35], v[80:81], s[50:51], v[32:33]
	;; [unrolled: 1-line block ×3, first 2 shown]
	v_add_f64 v[2:3], v[10:11], v[2:3]
	v_fma_f64 v[10:11], v[86:87], s[10:11], v[36:37]
	v_add_f64 v[0:1], v[16:17], v[0:1]
	v_fma_f64 v[16:17], v[86:87], s[10:11], -v[36:37]
	s_delay_alu instid0(VALU_DEP_3) | instskip(SKIP_1) | instid1(VALU_DEP_3)
	v_add_f64 v[8:9], v[10:11], v[8:9]
	v_fma_f64 v[10:11], v[88:89], s[52:53], v[48:49]
	v_add_f64 v[4:5], v[16:17], v[4:5]
	v_fma_f64 v[16:17], v[88:89], s[18:19], v[48:49]
	s_delay_alu instid0(VALU_DEP_3) | instskip(SKIP_1) | instid1(VALU_DEP_3)
	v_add_f64 v[2:3], v[10:11], v[2:3]
	v_fma_f64 v[10:11], v[92:93], s[22:23], v[50:51]
	v_add_f64 v[0:1], v[16:17], v[0:1]
	v_fma_f64 v[16:17], v[92:93], s[22:23], -v[50:51]
	s_delay_alu instid0(VALU_DEP_3) | instskip(SKIP_1) | instid1(VALU_DEP_3)
	v_add_f64 v[8:9], v[10:11], v[8:9]
	v_fma_f64 v[10:11], v[98:99], s[26:27], v[62:63]
	v_add_f64 v[4:5], v[16:17], v[4:5]
	v_fma_f64 v[16:17], v[98:99], s[42:43], v[62:63]
	s_delay_alu instid0(VALU_DEP_3) | instskip(SKIP_1) | instid1(VALU_DEP_3)
	;; [unrolled: 10-line block ×3, first 2 shown]
	v_add_f64 v[2:3], v[10:11], v[2:3]
	v_fma_f64 v[10:11], v[108:109], s[40:41], v[176:177]
	v_add_f64 v[0:1], v[16:17], v[0:1]
	v_fma_f64 v[16:17], v[108:109], s[40:41], -v[176:177]
	s_delay_alu instid0(VALU_DEP_3) | instskip(SKIP_1) | instid1(VALU_DEP_3)
	v_add_f64 v[8:9], v[10:11], v[8:9]
	v_fma_f64 v[10:11], v[112:113], s[20:21], v[184:185]
	v_add_f64 v[4:5], v[16:17], v[4:5]
	v_fma_f64 v[16:17], v[112:113], s[50:51], v[184:185]
	v_mul_f64 v[184:185], v[134:135], s[40:41]
	s_delay_alu instid0(VALU_DEP_4) | instskip(SKIP_1) | instid1(VALU_DEP_1)
	v_add_f64 v[10:11], v[10:11], v[2:3]
	v_mul_f64 v[2:3], v[132:133], s[50:51]
	v_fma_f64 v[186:187], v[116:117], s[16:17], v[2:3]
	v_fma_f64 v[18:19], v[116:117], s[16:17], -v[2:3]
	v_add_f64 v[2:3], v[16:17], v[0:1]
	v_mul_f64 v[16:17], v[94:95], s[28:29]
	s_delay_alu instid0(VALU_DEP_4) | instskip(NEXT) | instid1(VALU_DEP_4)
	v_add_f64 v[8:9], v[186:187], v[8:9]
	v_add_f64 v[0:1], v[18:19], v[4:5]
	v_mul_f64 v[18:19], v[90:91], s[42:43]
	s_delay_alu instid0(VALU_DEP_4) | instskip(SKIP_2) | instid1(VALU_DEP_3)
	v_fma_f64 v[4:5], v[76:77], s[26:27], v[16:17]
	v_fma_f64 v[16:17], v[76:77], s[42:43], v[16:17]
	v_mul_f64 v[186:187], v[132:133], s[34:35]
	v_add_f64 v[4:5], v[4:5], v[6:7]
	v_fma_f64 v[6:7], v[78:79], s[28:29], v[18:19]
	s_delay_alu instid0(VALU_DEP_4)
	v_add_f64 v[16:17], v[16:17], v[64:65]
	v_fma_f64 v[18:19], v[78:79], s[28:29], -v[18:19]
	v_mul_f64 v[64:65], v[90:91], s[18:19]
	v_add_f64 v[4:5], v[34:35], v[4:5]
	v_mul_f64 v[34:35], v[96:97], s[20:21]
	v_add_f64 v[6:7], v[6:7], v[52:53]
	v_add_f64 v[18:19], v[18:19], v[40:41]
	;; [unrolled: 1-line block ×3, first 2 shown]
	v_mul_f64 v[40:41], v[82:83], s[28:29]
	v_fma_f64 v[36:37], v[82:83], s[16:17], v[34:35]
	v_fma_f64 v[32:33], v[82:83], s[16:17], -v[34:35]
	v_fma_f64 v[34:35], v[116:117], s[40:41], -v[186:187]
	s_delay_alu instid0(VALU_DEP_4) | instskip(SKIP_4) | instid1(VALU_DEP_2)
	v_add_f64 v[40:41], v[40:41], -v[144:145]
	v_mul_f64 v[144:145], v[122:123], s[6:7]
	v_add_f64 v[6:7], v[36:37], v[6:7]
	v_mul_f64 v[36:37], v[110:111], s[22:23]
	v_add_f64 v[18:19], v[32:33], v[18:19]
	v_fma_f64 v[38:39], v[84:85], s[18:19], v[36:37]
	v_fma_f64 v[32:33], v[84:85], s[52:53], v[36:37]
	v_mul_f64 v[36:37], v[94:95], s[10:11]
	s_delay_alu instid0(VALU_DEP_3) | instskip(SKIP_1) | instid1(VALU_DEP_4)
	v_add_f64 v[4:5], v[38:39], v[4:5]
	v_mul_f64 v[38:39], v[106:107], s[52:53]
	v_add_f64 v[16:17], v[32:33], v[16:17]
	s_delay_alu instid0(VALU_DEP_4) | instskip(SKIP_1) | instid1(VALU_DEP_4)
	v_add_f64 v[36:37], v[138:139], v[36:37]
	v_mul_f64 v[138:139], v[106:107], s[48:49]
	v_fma_f64 v[48:49], v[86:87], s[22:23], v[38:39]
	v_fma_f64 v[32:33], v[86:87], s[22:23], -v[38:39]
	v_mul_f64 v[38:39], v[86:87], s[16:17]
	v_add_f64 v[20:21], v[36:37], v[20:21]
	v_mul_f64 v[36:37], v[102:103], s[22:23]
	v_add_f64 v[6:7], v[48:49], v[6:7]
	;; [unrolled: 2-line block ×3, first 2 shown]
	v_add_f64 v[38:39], v[38:39], -v[152:153]
	v_add_f64 v[36:37], v[36:37], -v[182:183]
	v_mul_f64 v[152:153], v[134:135], s[38:39]
	v_mul_f64 v[182:183], v[132:133], s[56:57]
	v_fma_f64 v[50:51], v[88:89], s[44:45], v[48:49]
	v_fma_f64 v[32:33], v[88:89], s[0:1], v[48:49]
	v_mul_f64 v[48:49], v[78:79], s[10:11]
	s_delay_alu instid0(VALU_DEP_3) | instskip(SKIP_1) | instid1(VALU_DEP_4)
	v_add_f64 v[4:5], v[50:51], v[4:5]
	v_mul_f64 v[50:51], v[114:115], s[0:1]
	v_add_f64 v[16:17], v[32:33], v[16:17]
	s_delay_alu instid0(VALU_DEP_4) | instskip(SKIP_1) | instid1(VALU_DEP_4)
	v_add_f64 v[48:49], v[48:49], -v[136:137]
	v_mul_f64 v[136:137], v[110:111], s[40:41]
	v_fma_f64 v[52:53], v[92:93], s[6:7], v[50:51]
	v_fma_f64 v[32:33], v[92:93], s[6:7], -v[50:51]
	s_delay_alu instid0(VALU_DEP_4)
	v_add_f64 v[22:23], v[48:49], v[22:23]
	v_mul_f64 v[50:51], v[118:119], s[40:41]
	v_mul_f64 v[48:49], v[78:79], s[16:17]
	v_add_f64 v[6:7], v[52:53], v[6:7]
	v_mul_f64 v[52:53], v[122:123], s[30:31]
	v_add_f64 v[18:19], v[32:33], v[18:19]
	v_add_f64 v[22:23], v[40:41], v[22:23]
	;; [unrolled: 1-line block ×3, first 2 shown]
	v_mul_f64 v[40:41], v[82:83], s[22:23]
	v_add_f64 v[48:49], v[48:49], -v[126:127]
	v_mul_f64 v[126:127], v[100:101], s[30:31]
	v_mul_f64 v[174:175], v[120:121], s[46:47]
	v_fma_f64 v[62:63], v[98:99], s[54:55], v[52:53]
	v_fma_f64 v[32:33], v[98:99], s[24:25], v[52:53]
	v_mul_f64 v[52:53], v[92:93], s[40:41]
	v_add_f64 v[22:23], v[38:39], v[22:23]
	v_mul_f64 v[38:39], v[134:135], s[30:31]
	v_add_f64 v[40:41], v[40:41], -v[140:141]
	v_add_f64 v[26:27], v[48:49], v[26:27]
	v_mul_f64 v[140:141], v[118:119], s[10:11]
	v_mul_f64 v[48:49], v[94:95], s[38:39]
	v_add_f64 v[4:5], v[62:63], v[4:5]
	v_mul_f64 v[62:63], v[120:121], s[24:25]
	v_add_f64 v[16:17], v[32:33], v[16:17]
	v_add_f64 v[52:53], v[52:53], -v[172:173]
	v_add_f64 v[38:39], v[203:204], v[38:39]
	v_mul_f64 v[172:173], v[122:123], s[38:39]
	v_add_f64 v[26:27], v[40:41], v[26:27]
	v_mul_f64 v[204:205], v[132:133], s[18:19]
	v_fma_f64 v[166:167], v[102:103], s[30:31], v[62:63]
	v_fma_f64 v[32:33], v[102:103], s[30:31], -v[62:63]
	v_mul_f64 v[62:63], v[122:123], s[22:23]
	v_add_f64 v[22:23], v[52:53], v[22:23]
	v_mul_f64 v[52:53], v[92:93], s[38:39]
	v_add_f64 v[6:7], v[166:167], v[6:7]
	;; [unrolled: 2-line block ×3, first 2 shown]
	v_add_f64 v[62:63], v[188:189], v[62:63]
	v_add_f64 v[22:23], v[36:37], v[22:23]
	v_mul_f64 v[36:37], v[116:117], s[30:31]
	v_add_f64 v[52:53], v[52:53], -v[154:155]
	v_mul_f64 v[154:155], v[132:133], s[46:47]
	v_mul_f64 v[188:189], v[106:107], s[26:27]
	v_fma_f64 v[168:169], v[104:105], s[8:9], v[166:167]
	v_fma_f64 v[32:33], v[104:105], s[56:57], v[166:167]
	v_mul_f64 v[166:167], v[106:107], s[44:45]
	v_add_f64 v[36:37], v[36:37], -v[201:202]
	v_mul_f64 v[202:203], v[134:135], s[22:23]
	v_add_f64 v[4:5], v[168:169], v[4:5]
	v_mul_f64 v[168:169], v[124:125], s[56:57]
	v_add_f64 v[16:17], v[32:33], v[16:17]
	s_delay_alu instid0(VALU_DEP_2) | instskip(SKIP_2) | instid1(VALU_DEP_3)
	v_fma_f64 v[32:33], v[108:109], s[10:11], -v[168:169]
	v_fma_f64 v[176:177], v[108:109], s[10:11], v[168:169]
	v_mul_f64 v[168:169], v[118:119], s[28:29]
	v_add_f64 v[32:33], v[32:33], v[18:19]
	v_fma_f64 v[18:19], v[112:113], s[34:35], v[184:185]
	s_delay_alu instid0(VALU_DEP_4) | instskip(SKIP_2) | instid1(VALU_DEP_4)
	v_add_f64 v[176:177], v[176:177], v[6:7]
	v_fma_f64 v[6:7], v[112:113], s[48:49], v[184:185]
	v_mul_f64 v[184:185], v[96:97], s[56:57]
	v_add_f64 v[18:19], v[18:19], v[16:17]
	v_add_f64 v[16:17], v[34:35], v[32:33]
	v_mul_f64 v[34:35], v[100:101], s[28:29]
	v_mul_f64 v[32:33], v[110:111], s[16:17]
	v_add_f64 v[6:7], v[6:7], v[4:5]
	v_fma_f64 v[4:5], v[116:117], s[40:41], v[186:187]
	v_mul_f64 v[186:187], v[110:111], s[28:29]
	v_add_f64 v[34:35], v[148:149], v[34:35]
	v_add_f64 v[32:33], v[158:159], v[32:33]
	v_mul_f64 v[148:149], v[128:129], s[16:17]
	v_mul_f64 v[158:159], v[100:101], s[40:41]
	v_add_f64 v[4:5], v[4:5], v[176:177]
	v_mul_f64 v[176:177], v[128:129], s[22:23]
	v_add_f64 v[20:21], v[34:35], v[20:21]
	v_mul_f64 v[34:35], v[128:129], s[38:39]
	s_delay_alu instid0(VALU_DEP_2) | instskip(SKIP_1) | instid1(VALU_DEP_3)
	v_add_f64 v[20:21], v[32:33], v[20:21]
	v_mul_f64 v[32:33], v[108:109], s[38:39]
	v_add_f64 v[34:35], v[199:200], v[34:35]
	v_mul_f64 v[200:201], v[124:125], s[0:1]
	s_delay_alu instid0(VALU_DEP_4) | instskip(NEXT) | instid1(VALU_DEP_4)
	v_add_f64 v[20:21], v[50:51], v[20:21]
	v_add_f64 v[32:33], v[32:33], -v[197:198]
	v_mul_f64 v[50:51], v[118:119], s[38:39]
	v_mul_f64 v[198:199], v[128:129], s[6:7]
	s_delay_alu instid0(VALU_DEP_4) | instskip(NEXT) | instid1(VALU_DEP_4)
	v_add_f64 v[20:21], v[62:63], v[20:21]
	v_add_f64 v[32:33], v[32:33], v[22:23]
	s_delay_alu instid0(VALU_DEP_4) | instskip(SKIP_4) | instid1(VALU_DEP_4)
	v_add_f64 v[50:51], v[156:157], v[50:51]
	v_mul_f64 v[62:63], v[122:123], s[40:41]
	v_mul_f64 v[156:157], v[90:91], s[24:25]
	v_add_f64 v[20:21], v[34:35], v[20:21]
	v_mul_f64 v[34:35], v[100:101], s[22:23]
	v_add_f64 v[62:63], v[170:171], v[62:63]
	v_mul_f64 v[170:171], v[114:115], s[26:27]
	s_delay_alu instid0(VALU_DEP_4)
	v_add_f64 v[22:23], v[38:39], v[20:21]
	v_add_f64 v[20:21], v[36:37], v[32:33]
	v_mul_f64 v[36:37], v[94:95], s[16:17]
	v_mul_f64 v[32:33], v[110:111], s[30:31]
	v_add_f64 v[34:35], v[142:143], v[34:35]
	v_mul_f64 v[38:39], v[86:87], s[30:31]
	v_mul_f64 v[142:143], v[114:115], s[56:57]
	v_add_f64 v[36:37], v[130:131], v[36:37]
	v_add_f64 v[32:33], v[150:151], v[32:33]
	v_mul_f64 v[130:131], v[96:97], s[54:55]
	v_add_f64 v[38:39], v[38:39], -v[146:147]
	v_mul_f64 v[146:147], v[120:121], s[0:1]
	v_mul_f64 v[150:151], v[124:125], s[20:21]
	v_add_f64 v[24:25], v[36:37], v[24:25]
	v_mul_f64 v[36:37], v[102:103], s[40:41]
	v_add_f64 v[26:27], v[38:39], v[26:27]
	v_mul_f64 v[38:39], v[134:135], s[6:7]
	s_delay_alu instid0(VALU_DEP_4) | instskip(NEXT) | instid1(VALU_DEP_4)
	v_add_f64 v[24:25], v[34:35], v[24:25]
	v_add_f64 v[36:37], v[36:37], -v[164:165]
	v_mul_f64 v[34:35], v[128:129], s[28:29]
	v_add_f64 v[26:27], v[52:53], v[26:27]
	v_add_f64 v[38:39], v[195:196], v[38:39]
	v_mul_f64 v[52:53], v[94:95], s[30:31]
	v_mul_f64 v[164:165], v[110:111], s[6:7]
	;; [unrolled: 1-line block ×4, first 2 shown]
	v_add_f64 v[24:25], v[32:33], v[24:25]
	v_mul_f64 v[32:33], v[108:109], s[28:29]
	v_add_f64 v[34:35], v[180:181], v[34:35]
	v_add_f64 v[26:27], v[36:37], v[26:27]
	v_mul_f64 v[36:37], v[116:117], s[6:7]
	v_mul_f64 v[180:181], v[134:135], s[10:11]
	v_add_f64 v[24:25], v[50:51], v[24:25]
	v_add_f64 v[32:33], v[32:33], -v[178:179]
	v_mul_f64 v[178:179], v[124:125], s[52:53]
	v_mul_f64 v[50:51], v[90:91], s[36:37]
	v_add_f64 v[36:37], v[36:37], -v[190:191]
	v_mul_f64 v[190:191], v[118:119], s[30:31]
	v_add_f64 v[24:25], v[62:63], v[24:25]
	v_add_f64 v[32:33], v[32:33], v[26:27]
	v_mul_f64 v[62:63], v[94:95], s[22:23]
	s_delay_alu instid0(VALU_DEP_3) | instskip(SKIP_1) | instid1(VALU_DEP_2)
	v_add_f64 v[24:25], v[34:35], v[24:25]
	v_fma_f64 v[34:35], v[78:79], s[30:31], -v[156:157]
	v_add_f64 v[26:27], v[38:39], v[24:25]
	v_add_f64 v[24:25], v[36:37], v[32:33]
	v_fma_f64 v[32:33], v[76:77], s[18:19], v[62:63]
	v_fma_f64 v[36:37], v[80:81], s[48:49], v[158:159]
	v_add_f64 v[34:35], v[34:35], v[46:47]
	v_fma_f64 v[38:39], v[78:79], s[38:39], -v[50:51]
	v_mul_f64 v[46:47], v[90:91], s[48:49]
	v_fma_f64 v[50:51], v[78:79], s[38:39], v[50:51]
	v_add_f64 v[28:29], v[32:33], v[28:29]
	v_fma_f64 v[32:33], v[78:79], s[22:23], -v[64:65]
	v_add_f64 v[38:39], v[38:39], v[44:45]
	v_mul_f64 v[44:45], v[94:95], s[40:41]
	v_add_f64 v[50:51], v[50:51], v[56:57]
	v_fma_f64 v[56:57], v[116:117], s[22:23], v[204:205]
	v_add_f64 v[30:31], v[32:33], v[30:31]
	v_fma_f64 v[32:33], v[80:81], s[54:55], v[126:127]
	s_delay_alu instid0(VALU_DEP_1) | instskip(SKIP_1) | instid1(VALU_DEP_1)
	v_add_f64 v[28:29], v[32:33], v[28:29]
	v_fma_f64 v[32:33], v[82:83], s[30:31], -v[130:131]
	v_add_f64 v[30:31], v[32:33], v[30:31]
	v_fma_f64 v[32:33], v[84:85], s[48:49], v[136:137]
	s_delay_alu instid0(VALU_DEP_1) | instskip(SKIP_1) | instid1(VALU_DEP_1)
	v_add_f64 v[28:29], v[32:33], v[28:29]
	v_fma_f64 v[32:33], v[86:87], s[40:41], -v[138:139]
	;; [unrolled: 5-line block ×6, first 2 shown]
	v_add_f64 v[28:29], v[28:29], v[32:33]
	v_fma_f64 v[32:33], v[76:77], s[24:25], v[52:53]
	v_fma_f64 v[52:53], v[76:77], s[54:55], v[52:53]
	s_delay_alu instid0(VALU_DEP_2) | instskip(SKIP_1) | instid1(VALU_DEP_3)
	v_add_f64 v[32:33], v[32:33], v[160:161]
	v_mul_f64 v[160:161], v[96:97], s[48:49]
	v_add_f64 v[52:53], v[52:53], v[74:75]
	s_delay_alu instid0(VALU_DEP_3) | instskip(NEXT) | instid1(VALU_DEP_3)
	v_add_f64 v[32:33], v[36:37], v[32:33]
	v_fma_f64 v[36:37], v[82:83], s[40:41], -v[160:161]
	s_delay_alu instid0(VALU_DEP_1) | instskip(SKIP_1) | instid1(VALU_DEP_1)
	v_add_f64 v[34:35], v[36:37], v[34:35]
	v_fma_f64 v[36:37], v[84:85], s[44:45], v[164:165]
	v_add_f64 v[32:33], v[36:37], v[32:33]
	v_fma_f64 v[36:37], v[86:87], s[6:7], -v[166:167]
	s_delay_alu instid0(VALU_DEP_1) | instskip(SKIP_1) | instid1(VALU_DEP_1)
	v_add_f64 v[34:35], v[36:37], v[34:35]
	v_fma_f64 v[36:37], v[88:89], s[26:27], v[168:169]
	;; [unrolled: 5-line block ×5, first 2 shown]
	v_add_f64 v[34:35], v[34:35], v[32:33]
	v_fma_f64 v[32:33], v[116:117], s[10:11], -v[182:183]
	s_delay_alu instid0(VALU_DEP_1) | instskip(SKIP_2) | instid1(VALU_DEP_2)
	v_add_f64 v[32:33], v[32:33], v[36:37]
	v_fma_f64 v[36:37], v[76:77], s[36:37], v[48:49]
	v_fma_f64 v[48:49], v[76:77], s[46:47], v[48:49]
	v_add_f64 v[36:37], v[36:37], v[72:73]
	v_mul_f64 v[72:73], v[100:101], s[10:11]
	s_delay_alu instid0(VALU_DEP_3) | instskip(NEXT) | instid1(VALU_DEP_2)
	v_add_f64 v[48:49], v[48:49], v[70:71]
	v_fma_f64 v[40:41], v[80:81], s[56:57], v[72:73]
	s_delay_alu instid0(VALU_DEP_1) | instskip(SKIP_1) | instid1(VALU_DEP_1)
	v_add_f64 v[36:37], v[40:41], v[36:37]
	v_fma_f64 v[40:41], v[82:83], s[10:11], -v[184:185]
	v_add_f64 v[38:39], v[40:41], v[38:39]
	v_fma_f64 v[40:41], v[84:85], s[26:27], v[186:187]
	s_delay_alu instid0(VALU_DEP_1) | instskip(SKIP_1) | instid1(VALU_DEP_1)
	v_add_f64 v[36:37], v[40:41], v[36:37]
	v_fma_f64 v[40:41], v[86:87], s[28:29], -v[188:189]
	;; [unrolled: 5-line block ×6, first 2 shown]
	v_add_f64 v[36:37], v[36:37], v[40:41]
	v_fma_f64 v[40:41], v[76:77], s[48:49], v[44:45]
	v_fma_f64 v[44:45], v[76:77], s[34:35], v[44:45]
	s_delay_alu instid0(VALU_DEP_2) | instskip(SKIP_2) | instid1(VALU_DEP_4)
	v_add_f64 v[40:41], v[40:41], v[68:69]
	v_fma_f64 v[68:69], v[78:79], s[40:41], -v[46:47]
	v_fma_f64 v[46:47], v[78:79], s[40:41], v[46:47]
	v_add_f64 v[44:45], v[44:45], v[66:67]
	s_delay_alu instid0(VALU_DEP_3) | instskip(SKIP_1) | instid1(VALU_DEP_4)
	v_add_f64 v[42:43], v[68:69], v[42:43]
	v_mul_f64 v[68:69], v[100:101], s[6:7]
	v_add_f64 v[46:47], v[46:47], v[54:55]
	s_delay_alu instid0(VALU_DEP_2) | instskip(SKIP_1) | instid1(VALU_DEP_2)
	v_fma_f64 v[90:91], v[80:81], s[0:1], v[68:69]
	v_fma_f64 v[54:55], v[80:81], s[44:45], v[68:69]
	v_add_f64 v[40:41], v[90:91], v[40:41]
	v_mul_f64 v[90:91], v[96:97], s[0:1]
	s_delay_alu instid0(VALU_DEP_3) | instskip(NEXT) | instid1(VALU_DEP_2)
	v_add_f64 v[44:45], v[54:55], v[44:45]
	v_fma_f64 v[94:95], v[82:83], s[6:7], -v[90:91]
	v_fma_f64 v[54:55], v[82:83], s[6:7], v[90:91]
	s_delay_alu instid0(VALU_DEP_2) | instskip(SKIP_1) | instid1(VALU_DEP_3)
	v_add_f64 v[42:43], v[94:95], v[42:43]
	v_mul_f64 v[94:95], v[110:111], s[38:39]
	v_add_f64 v[46:47], v[54:55], v[46:47]
	s_delay_alu instid0(VALU_DEP_2) | instskip(SKIP_1) | instid1(VALU_DEP_2)
	v_fma_f64 v[96:97], v[84:85], s[46:47], v[94:95]
	v_fma_f64 v[54:55], v[84:85], s[36:37], v[94:95]
	v_add_f64 v[40:41], v[96:97], v[40:41]
	v_mul_f64 v[96:97], v[106:107], s[46:47]
	s_delay_alu instid0(VALU_DEP_3) | instskip(NEXT) | instid1(VALU_DEP_2)
	v_add_f64 v[44:45], v[54:55], v[44:45]
	v_fma_f64 v[100:101], v[86:87], s[38:39], -v[96:97]
	v_fma_f64 v[54:55], v[86:87], s[38:39], v[96:97]
	s_delay_alu instid0(VALU_DEP_2) | instskip(SKIP_1) | instid1(VALU_DEP_3)
	;; [unrolled: 13-line block ×4, first 2 shown]
	v_add_f64 v[42:43], v[118:119], v[42:43]
	v_mul_f64 v[118:119], v[128:129], s[30:31]
	v_add_f64 v[46:47], v[54:55], v[46:47]
	v_mul_f64 v[128:129], v[132:133], s[42:43]
	s_delay_alu instid0(VALU_DEP_3) | instskip(SKIP_1) | instid1(VALU_DEP_3)
	v_fma_f64 v[120:121], v[104:105], s[24:25], v[118:119]
	v_fma_f64 v[54:55], v[104:105], s[54:55], v[118:119]
	;; [unrolled: 1-line block ×3, first 2 shown]
	s_delay_alu instid0(VALU_DEP_3) | instskip(SKIP_3) | instid1(VALU_DEP_3)
	v_add_f64 v[40:41], v[120:121], v[40:41]
	v_mul_f64 v[120:121], v[124:125], s[24:25]
	v_mul_f64 v[124:125], v[134:135], s[28:29]
	v_add_f64 v[44:45], v[54:55], v[44:45]
	v_fma_f64 v[54:55], v[108:109], s[30:31], v[120:121]
	v_fma_f64 v[122:123], v[108:109], s[30:31], -v[120:121]
	s_delay_alu instid0(VALU_DEP_2) | instskip(SKIP_1) | instid1(VALU_DEP_3)
	v_add_f64 v[54:55], v[54:55], v[46:47]
	v_fma_f64 v[46:47], v[112:113], s[26:27], v[124:125]
	v_add_f64 v[122:123], v[122:123], v[42:43]
	v_fma_f64 v[42:43], v[112:113], s[42:43], v[124:125]
	s_delay_alu instid0(VALU_DEP_3) | instskip(SKIP_2) | instid1(VALU_DEP_4)
	v_add_f64 v[46:47], v[46:47], v[44:45]
	v_add_f64 v[44:45], v[66:67], v[54:55]
	v_fma_f64 v[54:55], v[80:81], s[8:9], v[72:73]
	v_add_f64 v[42:43], v[42:43], v[40:41]
	v_fma_f64 v[40:41], v[116:117], s[28:29], -v[128:129]
	s_delay_alu instid0(VALU_DEP_3) | instskip(SKIP_1) | instid1(VALU_DEP_3)
	v_add_f64 v[48:49], v[54:55], v[48:49]
	v_fma_f64 v[54:55], v[82:83], s[10:11], v[184:185]
	v_add_f64 v[40:41], v[40:41], v[122:123]
	s_delay_alu instid0(VALU_DEP_2) | instskip(SKIP_1) | instid1(VALU_DEP_1)
	v_add_f64 v[50:51], v[54:55], v[50:51]
	v_fma_f64 v[54:55], v[84:85], s[42:43], v[186:187]
	v_add_f64 v[48:49], v[54:55], v[48:49]
	v_fma_f64 v[54:55], v[86:87], s[28:29], v[188:189]
	s_delay_alu instid0(VALU_DEP_1) | instskip(SKIP_1) | instid1(VALU_DEP_1)
	v_add_f64 v[50:51], v[54:55], v[50:51]
	v_fma_f64 v[54:55], v[88:89], s[54:55], v[190:191]
	v_add_f64 v[48:49], v[54:55], v[48:49]
	v_fma_f64 v[54:55], v[92:93], s[30:31], v[192:193]
	s_delay_alu instid0(VALU_DEP_1) | instskip(SKIP_1) | instid1(VALU_DEP_1)
	;; [unrolled: 5-line block ×4, first 2 shown]
	v_add_f64 v[54:55], v[54:55], v[50:51]
	v_fma_f64 v[50:51], v[112:113], s[52:53], v[202:203]
	v_add_f64 v[50:51], v[50:51], v[48:49]
	s_delay_alu instid0(VALU_DEP_3) | instskip(SKIP_2) | instid1(VALU_DEP_2)
	v_add_f64 v[48:49], v[56:57], v[54:55]
	v_fma_f64 v[54:55], v[78:79], s[30:31], v[156:157]
	v_fma_f64 v[56:57], v[80:81], s[34:35], v[158:159]
	v_add_f64 v[54:55], v[54:55], v[58:59]
	s_delay_alu instid0(VALU_DEP_2) | instskip(SKIP_2) | instid1(VALU_DEP_2)
	v_add_f64 v[52:53], v[56:57], v[52:53]
	v_fma_f64 v[56:57], v[82:83], s[40:41], v[160:161]
	v_fma_f64 v[58:59], v[116:117], s[10:11], v[182:183]
	v_add_f64 v[54:55], v[56:57], v[54:55]
	v_fma_f64 v[56:57], v[84:85], s[0:1], v[164:165]
	s_delay_alu instid0(VALU_DEP_1) | instskip(SKIP_1) | instid1(VALU_DEP_1)
	v_add_f64 v[52:53], v[56:57], v[52:53]
	v_fma_f64 v[56:57], v[86:87], s[6:7], v[166:167]
	v_add_f64 v[54:55], v[56:57], v[54:55]
	v_fma_f64 v[56:57], v[88:89], s[42:43], v[168:169]
	s_delay_alu instid0(VALU_DEP_1) | instskip(SKIP_1) | instid1(VALU_DEP_1)
	v_add_f64 v[52:53], v[56:57], v[52:53]
	;; [unrolled: 5-line block ×4, first 2 shown]
	v_fma_f64 v[56:57], v[108:109], s[22:23], v[178:179]
	v_add_f64 v[56:57], v[56:57], v[54:55]
	v_fma_f64 v[54:55], v[112:113], s[8:9], v[180:181]
	s_delay_alu instid0(VALU_DEP_1) | instskip(NEXT) | instid1(VALU_DEP_3)
	v_add_f64 v[54:55], v[54:55], v[52:53]
	v_add_f64 v[52:53], v[58:59], v[56:57]
	v_fma_f64 v[56:57], v[76:77], s[52:53], v[62:63]
	v_fma_f64 v[58:59], v[78:79], s[22:23], v[64:65]
	;; [unrolled: 1-line block ×4, first 2 shown]
	s_delay_alu instid0(VALU_DEP_4) | instskip(NEXT) | instid1(VALU_DEP_4)
	v_add_f64 v[56:57], v[56:57], v[162:163]
	v_add_f64 v[58:59], v[58:59], v[60:61]
	v_fma_f64 v[60:61], v[84:85], s[34:35], v[136:137]
	s_delay_alu instid0(VALU_DEP_3) | instskip(SKIP_1) | instid1(VALU_DEP_4)
	v_add_f64 v[56:57], v[62:63], v[56:57]
	v_fma_f64 v[62:63], v[86:87], s[40:41], v[138:139]
	v_add_f64 v[58:59], v[64:65], v[58:59]
	v_fma_f64 v[64:65], v[88:89], s[8:9], v[140:141]
	s_delay_alu instid0(VALU_DEP_4) | instskip(SKIP_1) | instid1(VALU_DEP_4)
	v_add_f64 v[56:57], v[60:61], v[56:57]
	v_fma_f64 v[60:61], v[92:93], s[10:11], v[142:143]
	v_add_f64 v[58:59], v[62:63], v[58:59]
	v_fma_f64 v[62:63], v[98:99], s[44:45], v[144:145]
	s_delay_alu instid0(VALU_DEP_4) | instskip(SKIP_1) | instid1(VALU_DEP_4)
	;; [unrolled: 5-line block ×4, first 2 shown]
	v_add_f64 v[56:57], v[60:61], v[56:57]
	v_fma_f64 v[60:61], v[116:117], s[38:39], v[154:155]
	v_add_f64 v[62:63], v[62:63], v[58:59]
	s_delay_alu instid0(VALU_DEP_3) | instskip(NEXT) | instid1(VALU_DEP_2)
	v_add_f64 v[58:59], v[64:65], v[56:57]
	v_add_f64 v[56:57], v[60:61], v[62:63]
	s_clause 0x1
	scratch_load_b32 v60, off, off
	scratch_load_b32 v61, off, off offset:4
	s_waitcnt vmcnt(1)
	v_mul_lo_u16 v60, v60, 17
	s_delay_alu instid0(VALU_DEP_1) | instskip(SKIP_1) | instid1(VALU_DEP_1)
	v_and_b32_e32 v60, 0xffff, v60
	s_waitcnt vmcnt(0)
	v_add_lshl_u32 v60, v61, v60, 4
	ds_store_b128 v60, v[12:15]
	ds_store_b128 v60, v[20:23] offset:16
	ds_store_b128 v60, v[24:27] offset:32
	;; [unrolled: 1-line block ×16, first 2 shown]
.LBB0_7:
	s_or_b32 exec_lo, exec_lo, s33
	scratch_load_b32 v45, off, off          ; 4-byte Folded Reload
	s_load_b128 s[4:7], s[4:5], 0x0
	s_waitcnt vmcnt(0) lgkmcnt(0)
	s_barrier
	buffer_gl0_inv
	s_mov_b32 s8, 0xe8584caa
	s_mov_b32 s9, 0x3febb67a
	;; [unrolled: 1-line block ×12, first 2 shown]
	v_and_b32_e32 v0, 0xff, v45
	v_add_co_u32 v3, null, v45, 51
	v_add_co_u32 v1, null, 0x66, v45
	s_delay_alu instid0(VALU_DEP_3) | instskip(NEXT) | instid1(VALU_DEP_3)
	v_mul_lo_u16 v0, 0xf1, v0
	v_and_b32_e32 v2, 0xff, v3
	s_delay_alu instid0(VALU_DEP_3) | instskip(NEXT) | instid1(VALU_DEP_3)
	v_and_b32_e32 v4, 0xff, v1
	v_lshrrev_b16 v5, 12, v0
	s_delay_alu instid0(VALU_DEP_3) | instskip(SKIP_1) | instid1(VALU_DEP_4)
	v_mul_lo_u16 v2, 0xf1, v2
	v_add_co_u32 v0, null, 0x99, v45
	v_mul_lo_u16 v9, 0xf1, v4
	s_delay_alu instid0(VALU_DEP_4) | instskip(NEXT) | instid1(VALU_DEP_4)
	v_mul_lo_u16 v7, v5, 17
	v_lshrrev_b16 v6, 12, v2
	s_delay_alu instid0(VALU_DEP_4) | instskip(SKIP_2) | instid1(VALU_DEP_4)
	v_and_b32_e32 v8, 0xff, v0
	v_add_co_u32 v2, null, 0xcc, v45
	v_lshrrev_b16 v49, 12, v9
	v_mul_lo_u16 v10, v6, 17
	s_delay_alu instid0(VALU_DEP_4) | instskip(NEXT) | instid1(VALU_DEP_4)
	v_mul_lo_u16 v8, 0xf1, v8
	v_and_b32_e32 v11, 0xff, v2
	v_sub_nc_u16 v7, v45, v7
	v_and_b32_e32 v6, 0xffff, v6
	v_sub_nc_u16 v10, v3, v10
	v_lshrrev_b16 v50, 12, v8
	v_mul_lo_u16 v8, 0xf1, v11
	v_mul_lo_u16 v11, v49, 17
	v_lshlrev_b16 v9, 1, v7
	v_and_b32_e32 v48, 0xff, v10
	v_mul_lo_u16 v10, v50, 17
	v_lshrrev_b16 v53, 12, v8
	v_sub_nc_u16 v8, v1, v11
	v_and_b32_e32 v9, 0xfe, v9
	v_lshlrev_b32_e32 v11, 5, v48
	v_sub_nc_u16 v10, v0, v10
	v_mul_lo_u16 v12, v53, 17
	v_and_b32_e32 v51, 0xff, v8
	v_lshlrev_b32_e32 v9, 4, v9
	s_clause 0x1
	global_load_b128 v[13:16], v9, s[2:3] offset:16
	global_load_b128 v[29:32], v9, s[2:3]
	v_sub_nc_u16 v8, v2, v12
	v_and_b32_e32 v52, 0xff, v10
	v_lshlrev_b32_e32 v9, 5, v51
	s_clause 0x1
	global_load_b128 v[33:36], v11, s[2:3]
	global_load_b128 v[21:24], v11, s[2:3] offset:16
	v_mad_u16 v5, v5, 51, v7
	v_and_b32_e32 v54, 0xff, v8
	v_lshlrev_b32_e32 v10, 5, v52
	s_clause 0x2
	global_load_b128 v[37:40], v9, s[2:3]
	global_load_b128 v[25:28], v9, s[2:3] offset:16
	global_load_b128 v[17:20], v10, s[2:3]
	v_lshlrev_b32_e32 v8, 5, v54
	s_clause 0x2
	global_load_b128 v[9:12], v10, s[2:3] offset:16
	global_load_b128 v[139:142], v8, s[2:3]
	global_load_b128 v[41:44], v8, s[2:3] offset:16
	scratch_load_b32 v46, off, off offset:4 ; 4-byte Folded Reload
	v_and_b32_e32 v7, 0xffff, v49
	v_mul_lo_u16 v8, 0xa1, v4
	v_and_b32_e32 v5, 0xff, v5
	v_mul_u32_u24_e32 v6, 51, v6
	v_lshlrev_b32_e32 v4, 6, v45
	v_mul_u32_u24_e32 v7, 51, v7
	v_lshrrev_b16 v8, 13, v8
	v_lshlrev_b32_e32 v0, 5, v0
	s_delay_alu instid0(VALU_DEP_2)
	v_mul_lo_u16 v8, v8, 51
	s_waitcnt vmcnt(0)
	v_add_lshl_u32 v255, v46, v45, 4
	ds_load_b128 v[55:58], v255 offset:4080
	ds_load_b128 v[59:62], v255 offset:8160
	;; [unrolled: 1-line block ×11, first 2 shown]
	s_clause 0x9
	scratch_store_b128 off, v[29:32], off offset:92
	scratch_store_b128 off, v[25:28], off offset:76
	;; [unrolled: 1-line block ×10, first 2 shown]
	s_waitcnt lgkmcnt(10)
	v_mul_f64 v[99:100], v[57:58], v[31:32]
	v_mul_f64 v[101:102], v[55:56], v[31:32]
	s_waitcnt lgkmcnt(9)
	v_mul_f64 v[103:104], v[61:62], v[15:16]
	v_mul_f64 v[105:106], v[59:60], v[15:16]
	;; [unrolled: 3-line block ×6, first 2 shown]
	s_waitcnt lgkmcnt(4)
	v_mul_f64 v[123:124], v[81:82], v[19:20]
	s_waitcnt lgkmcnt(3)
	v_mul_f64 v[125:126], v[85:86], v[11:12]
	v_mul_f64 v[127:128], v[79:80], v[19:20]
	v_mul_f64 v[129:130], v[83:84], v[11:12]
	s_waitcnt lgkmcnt(2)
	v_mul_f64 v[131:132], v[89:90], v[141:142]
	s_waitcnt lgkmcnt(1)
	v_mul_f64 v[133:134], v[93:94], v[43:44]
	v_mul_f64 v[135:136], v[87:88], v[141:142]
	;; [unrolled: 1-line block ×3, first 2 shown]
	v_add_lshl_u32 v12, v46, v5, 4
	v_add_nc_u32_e32 v5, v6, v48
	v_add_nc_u32_e32 v6, v7, v51
	s_delay_alu instid0(VALU_DEP_2)
	v_add_lshl_u32 v11, v46, v5, 4
	v_fma_f64 v[99:100], v[55:56], v[29:30], -v[99:100]
	v_fma_f64 v[101:102], v[57:58], v[29:30], v[101:102]
	v_fma_f64 v[103:104], v[59:60], v[13:14], -v[103:104]
	v_fma_f64 v[105:106], v[61:62], v[13:14], v[105:106]
	;; [unrolled: 2-line block ×6, first 2 shown]
	v_fma_f64 v[79:80], v[79:80], v[17:18], -v[123:124]
	v_fma_f64 v[83:84], v[83:84], v[9:10], -v[125:126]
	v_fma_f64 v[81:82], v[81:82], v[17:18], v[127:128]
	v_fma_f64 v[85:86], v[85:86], v[9:10], v[129:130]
	v_fma_f64 v[87:88], v[87:88], v[139:140], -v[131:132]
	v_fma_f64 v[91:92], v[91:92], v[41:42], -v[133:134]
	v_fma_f64 v[89:90], v[89:90], v[139:140], v[135:136]
	v_fma_f64 v[93:94], v[93:94], v[41:42], v[137:138]
	ds_load_b128 v[55:58], v255
	ds_load_b128 v[59:62], v255 offset:816
	ds_load_b128 v[63:66], v255 offset:1632
	;; [unrolled: 1-line block ×3, first 2 shown]
	v_and_b32_e32 v9, 0xffff, v50
	v_and_b32_e32 v10, 0xffff, v53
	s_waitcnt lgkmcnt(0)
	s_waitcnt_vscnt null, 0x0
	s_barrier
	buffer_gl0_inv
	v_mul_u32_u24_e32 v9, 51, v9
	v_mul_u32_u24_e32 v10, 51, v10
	s_delay_alu instid0(VALU_DEP_2) | instskip(NEXT) | instid1(VALU_DEP_2)
	v_add_nc_u32_e32 v7, v9, v52
	v_add_nc_u32_e32 v9, v10, v54
	v_add_lshl_u32 v10, v46, v6, 4
	s_delay_alu instid0(VALU_DEP_3) | instskip(NEXT) | instid1(VALU_DEP_3)
	v_add_lshl_u32 v6, v46, v7, 4
	v_add_lshl_u32 v5, v46, v9, 4
	v_add_f64 v[115:116], v[99:100], v[103:104]
	v_add_f64 v[117:118], v[101:102], v[105:106]
	;; [unrolled: 1-line block ×3, first 2 shown]
	v_add_f64 v[137:138], v[101:102], -v[105:106]
	v_add_f64 v[119:120], v[107:108], v[111:112]
	v_add_f64 v[121:122], v[109:110], v[113:114]
	;; [unrolled: 1-line block ×8, first 2 shown]
	v_add_f64 v[99:100], v[99:100], -v[103:104]
	v_add_f64 v[129:130], v[81:82], v[85:86]
	v_add_f64 v[109:110], v[109:110], -v[113:114]
	v_add_f64 v[131:132], v[87:88], v[91:92]
	;; [unrolled: 2-line block ×3, first 2 shown]
	v_add_f64 v[155:156], v[73:74], -v[77:78]
	v_add_f64 v[157:158], v[71:72], -v[75:76]
	;; [unrolled: 1-line block ×6, first 2 shown]
	v_add_f64 v[143:144], v[63:64], v[71:72]
	v_add_f64 v[145:146], v[65:66], v[73:74]
	v_add_f64 v[147:148], v[67:68], v[79:80]
	v_add_f64 v[149:150], v[69:70], v[81:82]
	v_add_f64 v[151:152], v[95:96], v[87:88]
	v_add_f64 v[153:154], v[97:98], v[89:90]
	v_fma_f64 v[115:116], v[115:116], -0.5, v[55:56]
	v_fma_f64 v[117:118], v[117:118], -0.5, v[57:58]
	v_add_f64 v[55:56], v[135:136], v[103:104]
	v_fma_f64 v[119:120], v[119:120], -0.5, v[59:60]
	v_fma_f64 v[121:122], v[121:122], -0.5, v[61:62]
	v_add_f64 v[57:58], v[101:102], v[105:106]
	v_add_f64 v[59:60], v[139:140], v[111:112]
	v_fma_f64 v[123:124], v[123:124], -0.5, v[63:64]
	v_fma_f64 v[125:126], v[125:126], -0.5, v[65:66]
	v_add_f64 v[61:62], v[141:142], v[113:114]
	v_fma_f64 v[127:128], v[127:128], -0.5, v[67:68]
	v_fma_f64 v[129:130], v[129:130], -0.5, v[69:70]
	;; [unrolled: 1-line block ×4, first 2 shown]
	v_add_f64 v[63:64], v[143:144], v[75:76]
	v_add_f64 v[65:66], v[145:146], v[77:78]
	;; [unrolled: 1-line block ×6, first 2 shown]
	v_fma_f64 v[79:80], v[137:138], s[10:11], v[115:116]
	v_fma_f64 v[81:82], v[99:100], s[8:9], v[117:118]
	;; [unrolled: 1-line block ×20, first 2 shown]
	ds_store_b128 v12, v[55:58]
	ds_store_b128 v12, v[75:78] offset:272
	scratch_store_b32 off, v12, off offset:412 ; 4-byte Folded Spill
	ds_store_b128 v12, v[79:82] offset:544
	ds_store_b128 v11, v[59:62]
	ds_store_b128 v11, v[83:86] offset:272
	scratch_store_b32 off, v11, off offset:408 ; 4-byte Folded Spill
	ds_store_b128 v11, v[87:90] offset:544
	;; [unrolled: 4-line block ×5, first 2 shown]
	v_sub_nc_u16 v5, v1, v8
	s_waitcnt lgkmcnt(0)
	s_waitcnt_vscnt null, 0x0
	s_barrier
	buffer_gl0_inv
	global_load_b128 v[60:63], v4, s[2:3] offset:544
	v_and_b32_e32 v5, 0xff, v5
	s_clause 0x2
	global_load_b128 v[56:59], v4, s[2:3] offset:560
	global_load_b128 v[52:55], v4, s[2:3] offset:576
	;; [unrolled: 1-line block ×3, first 2 shown]
	v_lshlrev_b32_e32 v1, 5, v1
	v_lshlrev_b32_e32 v6, 6, v5
	s_clause 0x3
	global_load_b128 v[20:23], v6, s[2:3] offset:544
	global_load_b128 v[16:19], v6, s[2:3] offset:560
	;; [unrolled: 1-line block ×4, first 2 shown]
	ds_load_b128 v[80:83], v255 offset:2448
	ds_load_b128 v[84:87], v255 offset:4896
	;; [unrolled: 1-line block ×13, first 2 shown]
	v_add_lshl_u32 v5, v46, v5, 4
	s_waitcnt vmcnt(6) lgkmcnt(11)
	v_mul_f64 v[134:135], v[86:87], v[58:59]
	s_waitcnt vmcnt(5) lgkmcnt(10)
	v_mul_f64 v[136:137], v[90:91], v[54:55]
	s_waitcnt lgkmcnt(7)
	v_mul_f64 v[154:155], v[100:101], v[58:59]
	s_waitcnt lgkmcnt(6)
	v_mul_f64 v[158:159], v[104:105], v[54:55]
	v_mul_f64 v[138:139], v[84:85], v[58:59]
	;; [unrolled: 1-line block ×5, first 2 shown]
	s_waitcnt vmcnt(4)
	v_mul_f64 v[140:141], v[94:95], v[50:51]
	s_waitcnt vmcnt(2) lgkmcnt(2)
	v_mul_f64 v[166:167], v[122:123], v[18:19]
	s_waitcnt vmcnt(1) lgkmcnt(1)
	v_mul_f64 v[168:169], v[126:127], v[14:15]
	v_mul_f64 v[170:171], v[120:121], v[18:19]
	;; [unrolled: 1-line block ×12, first 2 shown]
	s_waitcnt vmcnt(0) lgkmcnt(0)
	v_mul_f64 v[172:173], v[130:131], v[10:11]
	v_mul_f64 v[176:177], v[128:129], v[10:11]
	s_clause 0x3
	scratch_store_b128 off, v[12:15], off offset:188
	scratch_store_b128 off, v[8:11], off offset:172
	scratch_store_b128 off, v[20:23], off offset:220
	scratch_store_b128 off, v[16:19], off offset:204
	v_fma_f64 v[134:135], v[84:85], v[56:57], -v[134:135]
	v_fma_f64 v[88:89], v[88:89], v[52:53], -v[136:137]
	v_fma_f64 v[102:103], v[102:103], v[56:57], v[154:155]
	v_fma_f64 v[106:107], v[106:107], v[52:53], v[158:159]
	;; [unrolled: 1-line block ×4, first 2 shown]
	v_fma_f64 v[6:7], v[80:81], v[60:61], -v[6:7]
	v_fma_f64 v[132:133], v[82:83], v[60:61], v[132:133]
	v_fma_f64 v[92:93], v[92:93], v[48:49], -v[140:141]
	v_fma_f64 v[120:121], v[120:121], v[16:17], -v[166:167]
	;; [unrolled: 1-line block ×3, first 2 shown]
	v_fma_f64 v[122:123], v[122:123], v[16:17], v[170:171]
	v_fma_f64 v[126:127], v[126:127], v[12:13], v[174:175]
	;; [unrolled: 1-line block ×3, first 2 shown]
	v_fma_f64 v[100:101], v[100:101], v[56:57], -v[150:151]
	v_fma_f64 v[104:105], v[104:105], v[52:53], -v[152:153]
	;; [unrolled: 1-line block ×3, first 2 shown]
	v_fma_f64 v[98:99], v[98:99], v[60:61], v[148:149]
	v_fma_f64 v[108:109], v[108:109], v[48:49], -v[156:157]
	v_fma_f64 v[110:111], v[110:111], v[48:49], v[160:161]
	v_fma_f64 v[116:117], v[116:117], v[20:21], -v[162:163]
	;; [unrolled: 2-line block ×3, first 2 shown]
	v_fma_f64 v[130:131], v[130:131], v[8:9], v[176:177]
	ds_load_b128 v[80:83], v255
	ds_load_b128 v[84:87], v255 offset:816
	v_lshlrev_b32_e32 v8, 5, v3
	s_waitcnt lgkmcnt(0)
	s_waitcnt_vscnt null, 0x0
	s_barrier
	buffer_gl0_inv
	v_add_f64 v[138:139], v[134:135], v[88:89]
	v_add_f64 v[174:175], v[134:135], -v[88:89]
	v_add_f64 v[162:163], v[102:103], v[106:107]
	v_add_f64 v[190:191], v[102:103], -v[106:107]
	v_add_f64 v[146:147], v[136:137], v[90:91]
	v_add_f64 v[140:141], v[80:81], v[6:7]
	v_add_f64 v[152:153], v[6:7], -v[134:135]
	v_add_f64 v[142:143], v[6:7], v[92:93]
	v_add_f64 v[156:157], v[92:93], -v[88:89]
	;; [unrolled: 2-line block ×3, first 2 shown]
	v_add_f64 v[176:177], v[122:123], v[126:127]
	v_add_f64 v[150:151], v[132:133], v[94:95]
	v_add_f64 v[144:145], v[132:133], -v[94:95]
	v_add_f64 v[154:155], v[100:101], v[104:105]
	v_add_f64 v[164:165], v[88:89], -v[92:93]
	v_add_f64 v[168:169], v[82:83], v[132:133]
	v_add_f64 v[158:159], v[96:97], v[108:109]
	;; [unrolled: 1-line block ×4, first 2 shown]
	v_add_f64 v[192:193], v[96:97], -v[100:101]
	v_add_f64 v[172:173], v[116:117], v[128:129]
	v_add_f64 v[178:179], v[118:119], v[130:131]
	v_add_f64 v[196:197], v[100:101], -v[96:97]
	v_add_f64 v[200:201], v[86:87], v[98:99]
	v_add_f64 v[96:97], v[96:97], -v[108:109]
	v_add_f64 v[204:205], v[112:113], v[116:117]
	v_add_f64 v[206:207], v[114:115], v[118:119]
	v_add_f64 v[210:211], v[118:119], -v[130:131]
	v_add_f64 v[214:215], v[116:117], -v[128:129]
	;; [unrolled: 1-line block ×10, first 2 shown]
	v_fma_f64 v[138:139], v[138:139], -0.5, v[80:81]
	v_add_f64 v[194:195], v[108:109], -v[104:105]
	v_fma_f64 v[162:163], v[162:163], -0.5, v[86:87]
	v_add_f64 v[198:199], v[104:105], -v[108:109]
	;; [unrolled: 2-line block ×3, first 2 shown]
	v_add_f64 v[98:99], v[102:103], -v[98:99]
	v_fma_f64 v[80:81], v[142:143], -0.5, v[80:81]
	v_add_f64 v[212:213], v[116:117], -v[120:121]
	v_fma_f64 v[170:171], v[170:171], -0.5, v[112:113]
	;; [unrolled: 2-line block ×3, first 2 shown]
	v_fma_f64 v[82:83], v[150:151], -0.5, v[82:83]
	v_add_f64 v[150:151], v[106:107], -v[110:111]
	v_fma_f64 v[154:155], v[154:155], -0.5, v[84:85]
	v_add_f64 v[216:217], v[118:119], -v[122:123]
	v_add_f64 v[218:219], v[130:131], -v[126:127]
	v_fma_f64 v[84:85], v[158:159], -0.5, v[84:85]
	v_fma_f64 v[86:87], v[166:167], -0.5, v[86:87]
	v_add_f64 v[158:159], v[122:123], -v[126:127]
	v_add_f64 v[166:167], v[128:129], -v[124:125]
	v_fma_f64 v[112:113], v[172:173], -0.5, v[112:113]
	v_add_f64 v[172:173], v[120:121], -v[124:125]
	v_fma_f64 v[114:115], v[178:179], -0.5, v[114:115]
	v_add_f64 v[178:179], v[124:125], -v[128:129]
	v_add_f64 v[118:119], v[122:123], -v[118:119]
	v_add_f64 v[134:135], v[140:141], v[134:135]
	v_add_f64 v[140:141], v[152:153], v[156:157]
	;; [unrolled: 1-line block ×8, first 2 shown]
	v_add_f64 v[220:221], v[126:127], -v[130:131]
	v_add_f64 v[156:157], v[180:181], v[182:183]
	v_add_f64 v[142:143], v[110:111], -v[106:107]
	v_add_f64 v[132:133], v[132:133], v[184:185]
	v_fma_f64 v[160:161], v[144:145], s[18:19], v[138:139]
	v_fma_f64 v[138:139], v[144:145], s[20:21], v[138:139]
	;; [unrolled: 1-line block ×6, first 2 shown]
	v_add_f64 v[192:193], v[192:193], v[194:195]
	v_fma_f64 v[164:165], v[148:149], s[20:21], v[80:81]
	v_fma_f64 v[80:81], v[148:149], s[18:19], v[80:81]
	;; [unrolled: 1-line block ×18, first 2 shown]
	v_add_f64 v[194:195], v[196:197], v[198:199]
	v_add_f64 v[150:151], v[98:99], v[150:151]
	;; [unrolled: 1-line block ×13, first 2 shown]
	v_fma_f64 v[106:107], v[148:149], s[0:1], v[160:161]
	v_fma_f64 v[116:117], v[148:149], s[16:17], v[138:139]
	;; [unrolled: 1-line block ×24, first 2 shown]
	s_mov_b32 s0, 0x372fe950
	s_mov_b32 s1, 0x3fd3c6ef
	v_add_f64 v[80:81], v[88:89], v[92:93]
	v_add_f64 v[82:83], v[90:91], v[94:95]
	;; [unrolled: 1-line block ×6, first 2 shown]
	v_fma_f64 v[92:93], v[140:141], s[0:1], v[106:107]
	v_fma_f64 v[96:97], v[140:141], s[0:1], v[116:117]
	;; [unrolled: 1-line block ×24, first 2 shown]
	v_lshlrev_b32_e32 v6, 5, v45
	v_add_co_u32 v4, s0, s2, v4
	s_delay_alu instid0(VALU_DEP_1)
	v_add_co_ci_u32_e64 v7, null, s3, 0, s0
	ds_store_b128 v255, v[80:83]
	ds_store_b128 v255, v[92:95] offset:816
	ds_store_b128 v255, v[100:103] offset:1632
	;; [unrolled: 1-line block ×13, first 2 shown]
	v_sub_co_u32 v3, s0, v4, v6
	s_delay_alu instid0(VALU_DEP_1)
	v_subrev_co_ci_u32_e64 v4, s0, 0, v7, s0
	scratch_store_b32 off, v5, off offset:416 ; 4-byte Folded Spill
	ds_store_b128 v5, v[128:131] offset:11424
	s_waitcnt lgkmcnt(0)
	s_waitcnt_vscnt null, 0x0
	s_barrier
	buffer_gl0_inv
	s_clause 0x5
	global_load_b128 v[13:16], v[3:4], off offset:3808
	global_load_b128 v[9:12], v[3:4], off offset:3824
	global_load_b128 v[21:24], v8, s[2:3] offset:3808
	global_load_b128 v[17:20], v8, s[2:3] offset:3824
	;; [unrolled: 1-line block ×4, first 2 shown]
	v_lshlrev_b32_e32 v1, 5, v2
	s_clause 0x3
	global_load_b128 v[37:40], v0, s[2:3] offset:3808
	global_load_b128 v[33:36], v0, s[2:3] offset:3824
	;; [unrolled: 1-line block ×4, first 2 shown]
	ds_load_b128 v[0:3], v255 offset:4080
	ds_load_b128 v[4:7], v255 offset:8160
	;; [unrolled: 1-line block ×11, first 2 shown]
	s_waitcnt vmcnt(9) lgkmcnt(10)
	v_mul_f64 v[156:157], v[2:3], v[15:16]
	s_waitcnt vmcnt(8) lgkmcnt(9)
	v_mul_f64 v[160:161], v[6:7], v[11:12]
	v_mul_f64 v[158:159], v[0:1], v[15:16]
	;; [unrolled: 1-line block ×3, first 2 shown]
	s_waitcnt vmcnt(7) lgkmcnt(8)
	v_mul_f64 v[164:165], v[122:123], v[23:24]
	s_waitcnt vmcnt(6) lgkmcnt(7)
	v_mul_f64 v[168:169], v[126:127], v[19:20]
	;; [unrolled: 2-line block ×3, first 2 shown]
	v_mul_f64 v[174:175], v[128:129], v[31:32]
	s_waitcnt vmcnt(4) lgkmcnt(5)
	v_mul_f64 v[176:177], v[134:135], v[27:28]
	s_waitcnt vmcnt(1) lgkmcnt(2)
	;; [unrolled: 2-line block ×3, first 2 shown]
	v_mul_f64 v[194:195], v[148:149], v[43:44]
	v_mul_f64 v[166:167], v[120:121], v[23:24]
	;; [unrolled: 1-line block ×6, first 2 shown]
	s_clause 0x9
	scratch_store_b128 off, v[13:16], off offset:252
	scratch_store_b128 off, v[9:12], off offset:236
	;; [unrolled: 1-line block ×10, first 2 shown]
	v_mul_f64 v[180:181], v[138:139], v[39:40]
	v_mul_f64 v[182:183], v[142:143], v[35:36]
	;; [unrolled: 1-line block ×4, first 2 shown]
	v_fma_f64 v[156:157], v[0:1], v[13:14], -v[156:157]
	v_fma_f64 v[160:161], v[4:5], v[9:10], -v[160:161]
	v_fma_f64 v[158:159], v[2:3], v[13:14], v[158:159]
	v_fma_f64 v[162:163], v[6:7], v[9:10], v[162:163]
	v_fma_f64 v[164:165], v[120:121], v[21:22], -v[164:165]
	v_fma_f64 v[168:169], v[124:125], v[17:18], -v[168:169]
	;; [unrolled: 1-line block ×3, first 2 shown]
	ds_load_b128 v[0:3], v255
	ds_load_b128 v[4:7], v255 offset:816
	v_fma_f64 v[132:133], v[132:133], v[25:26], -v[176:177]
	v_fma_f64 v[146:147], v[146:147], v[64:65], v[192:193]
	v_fma_f64 v[150:151], v[150:151], v[41:42], v[194:195]
	;; [unrolled: 1-line block ×4, first 2 shown]
	ds_load_b128 v[120:123], v255 offset:1632
	ds_load_b128 v[124:127], v255 offset:2448
	v_fma_f64 v[130:131], v[130:131], v[29:30], v[174:175]
	v_fma_f64 v[134:135], v[134:135], v[25:26], v[178:179]
	v_fma_f64 v[144:145], v[144:145], v[64:65], -v[188:189]
	v_fma_f64 v[148:149], v[148:149], v[41:42], -v[190:191]
	;; [unrolled: 1-line block ×4, first 2 shown]
	v_fma_f64 v[138:139], v[138:139], v[37:38], v[184:185]
	v_fma_f64 v[142:143], v[142:143], v[33:34], v[186:187]
	s_waitcnt lgkmcnt(3)
	v_add_f64 v[192:193], v[0:1], v[156:157]
	v_add_f64 v[172:173], v[156:157], v[160:161]
	v_add_f64 v[212:213], v[156:157], -v[160:161]
	v_add_f64 v[194:195], v[158:159], -v[162:163]
	s_waitcnt lgkmcnt(2)
	v_add_f64 v[196:197], v[4:5], v[164:165]
	v_add_f64 v[176:177], v[164:165], v[168:169]
	;; [unrolled: 1-line block ×4, first 2 shown]
	s_waitcnt lgkmcnt(1)
	v_add_f64 v[200:201], v[120:121], v[128:129]
	v_add_f64 v[180:181], v[128:129], v[132:133]
	;; [unrolled: 1-line block ×6, first 2 shown]
	v_add_f64 v[166:167], v[166:167], -v[170:171]
	v_add_f64 v[202:203], v[122:123], v[130:131]
	v_add_f64 v[182:183], v[130:131], v[134:135]
	;; [unrolled: 1-line block ×4, first 2 shown]
	v_add_f64 v[214:215], v[164:165], -v[168:169]
	v_add_f64 v[216:217], v[130:131], -v[134:135]
	;; [unrolled: 1-line block ×3, first 2 shown]
	s_waitcnt lgkmcnt(0)
	v_add_f64 v[204:205], v[124:125], v[136:137]
	v_add_f64 v[184:185], v[136:137], v[140:141]
	;; [unrolled: 1-line block ×4, first 2 shown]
	v_fma_f64 v[0:1], v[172:173], -0.5, v[0:1]
	v_add_f64 v[168:169], v[196:197], v[168:169]
	v_fma_f64 v[4:5], v[176:177], -0.5, v[4:5]
	v_fma_f64 v[2:3], v[174:175], -0.5, v[2:3]
	v_add_f64 v[156:157], v[200:201], v[132:133]
	v_fma_f64 v[120:121], v[180:181], -0.5, v[120:121]
	v_add_f64 v[180:181], v[128:129], -v[132:133]
	v_fma_f64 v[190:191], v[190:191], -0.5, v[154:155]
	v_add_f64 v[170:171], v[198:199], v[170:171]
	v_fma_f64 v[6:7], v[178:179], -0.5, v[6:7]
	v_add_f64 v[130:131], v[210:211], v[150:151]
	v_fma_f64 v[122:123], v[182:183], -0.5, v[122:123]
	v_add_f64 v[182:183], v[138:139], -v[142:143]
	v_fma_f64 v[188:189], v[188:189], -0.5, v[152:153]
	v_add_f64 v[138:139], v[158:159], v[162:163]
	v_add_f64 v[158:159], v[202:203], v[134:135]
	;; [unrolled: 1-line block ×4, first 2 shown]
	v_fma_f64 v[124:125], v[184:185], -0.5, v[124:125]
	v_add_f64 v[184:185], v[136:137], -v[140:141]
	v_fma_f64 v[126:127], v[186:187], -0.5, v[126:127]
	v_add_f64 v[186:187], v[146:147], -v[150:151]
	v_add_f64 v[136:137], v[192:193], v[160:161]
	v_add_f64 v[146:147], v[206:207], v[142:143]
	v_fma_f64 v[176:177], v[194:195], s[8:9], v[0:1]
	v_fma_f64 v[172:173], v[194:195], s[10:11], v[0:1]
	scratch_load_b32 v1, off, off offset:8  ; 4-byte Folded Reload
	v_lshlrev_b32_e32 v0, 4, v45
	v_fma_f64 v[164:165], v[166:167], s[8:9], v[4:5]
	v_fma_f64 v[178:179], v[212:213], s[10:11], v[2:3]
	;; [unrolled: 1-line block ×7, first 2 shown]
	scratch_store_b32 off, v0, off offset:420 ; 4-byte Folded Spill
	v_fma_f64 v[166:167], v[214:215], s[10:11], v[6:7]
	v_fma_f64 v[162:163], v[214:215], s[8:9], v[6:7]
	;; [unrolled: 1-line block ×11, first 2 shown]
	s_waitcnt vmcnt(0)
	v_lshl_add_u32 v192, v45, 4, v1
	v_add_nc_u32_e32 v2, v0, v1
	ds_store_b128 v192, v[136:139]
	ds_store_b128 v192, v[168:171] offset:816
	ds_store_b128 v192, v[172:175] offset:8160
	;; [unrolled: 1-line block ×14, first 2 shown]
	s_waitcnt lgkmcnt(0)
	s_waitcnt_vscnt null, 0x0
	s_barrier
	buffer_gl0_inv
	s_and_saveexec_b32 s1, vcc_lo
	s_cbranch_execz .LBB0_9
; %bb.8:
	v_add_co_u32 v3, s0, s12, v249
	s_delay_alu instid0(VALU_DEP_1) | instskip(SKIP_1) | instid1(VALU_DEP_3)
	v_add_co_ci_u32_e64 v4, null, s13, 0, s0
	v_dual_mov_b32 v7, v226 :: v_dual_mov_b32 v8, v227
	v_add_co_u32 v0, s0, 0x2000, v3
	s_delay_alu instid0(VALU_DEP_1) | instskip(SKIP_4) | instid1(VALU_DEP_1)
	v_add_co_ci_u32_e64 v1, s0, 0, v4, s0
	v_dual_mov_b32 v9, v228 :: v_dual_mov_b32 v10, v229
	v_dual_mov_b32 v11, v233 :: v_dual_mov_b32 v12, v234
	global_load_b128 v[180:183], v[0:1], off offset:4048
	v_add_co_u32 v0, s0, 0x2fd0, v3
	v_add_co_ci_u32_e64 v1, s0, 0, v4, s0
	s_clause 0x3
	global_load_b128 v[184:187], v[0:1], off offset:720
	global_load_b128 v[188:191], v[0:1], off offset:1440
	;; [unrolled: 1-line block ×4, first 2 shown]
	ds_load_b128 v[201:204], v192
	ds_load_b128 v[205:208], v192 offset:3600
	ds_load_b128 v[225:228], v192 offset:7200
	;; [unrolled: 1-line block ×3, first 2 shown]
	v_dual_mov_b32 v13, v235 :: v_dual_mov_b32 v14, v236
	ds_load_b128 v[209:212], v192 offset:4320
	ds_load_b128 v[213:216], v192 offset:5040
	;; [unrolled: 1-line block ×4, first 2 shown]
	s_waitcnt vmcnt(4) lgkmcnt(7)
	v_mul_f64 v[5:6], v[203:204], v[182:183]
	v_mul_f64 v[182:183], v[201:202], v[182:183]
	s_delay_alu instid0(VALU_DEP_2) | instskip(NEXT) | instid1(VALU_DEP_2)
	v_fma_f64 v[201:202], v[201:202], v[180:181], -v[5:6]
	v_fma_f64 v[203:204], v[203:204], v[180:181], v[182:183]
	ds_load_b128 v[180:183], v192 offset:720
	s_waitcnt vmcnt(3) lgkmcnt(0)
	v_mul_f64 v[5:6], v[182:183], v[186:187]
	v_mul_f64 v[186:187], v[180:181], v[186:187]
	s_delay_alu instid0(VALU_DEP_2) | instskip(NEXT) | instid1(VALU_DEP_2)
	v_fma_f64 v[180:181], v[180:181], v[184:185], -v[5:6]
	v_fma_f64 v[182:183], v[182:183], v[184:185], v[186:187]
	ds_load_b128 v[184:187], v192 offset:1440
	;; [unrolled: 7-line block ×4, first 2 shown]
	s_waitcnt vmcnt(0) lgkmcnt(0)
	v_mul_f64 v[5:6], v[195:196], v[199:200]
	v_mul_f64 v[199:200], v[193:194], v[199:200]
	s_delay_alu instid0(VALU_DEP_2) | instskip(NEXT) | instid1(VALU_DEP_2)
	v_fma_f64 v[193:194], v[193:194], v[197:198], -v[5:6]
	v_fma_f64 v[195:196], v[195:196], v[197:198], v[199:200]
	global_load_b128 v[197:200], v[0:1], off offset:3600
	s_waitcnt vmcnt(0)
	v_mul_f64 v[0:1], v[207:208], v[199:200]
	v_mul_f64 v[5:6], v[205:206], v[199:200]
	s_delay_alu instid0(VALU_DEP_2) | instskip(SKIP_1) | instid1(VALU_DEP_1)
	v_fma_f64 v[205:206], v[205:206], v[197:198], -v[0:1]
	v_add_co_u32 v0, s0, 0x4000, v3
	v_add_co_ci_u32_e64 v1, s0, 0, v4, s0
	s_delay_alu instid0(VALU_DEP_4) | instskip(SKIP_4) | instid1(VALU_DEP_2)
	v_fma_f64 v[207:208], v[207:208], v[197:198], v[5:6]
	global_load_b128 v[197:200], v[0:1], off offset:176
	s_waitcnt vmcnt(0)
	v_mul_f64 v[5:6], v[211:212], v[199:200]
	v_mul_f64 v[199:200], v[209:210], v[199:200]
	v_fma_f64 v[209:210], v[209:210], v[197:198], -v[5:6]
	s_delay_alu instid0(VALU_DEP_2) | instskip(SKIP_4) | instid1(VALU_DEP_2)
	v_fma_f64 v[211:212], v[211:212], v[197:198], v[199:200]
	global_load_b128 v[197:200], v[0:1], off offset:896
	s_waitcnt vmcnt(0)
	v_mul_f64 v[5:6], v[215:216], v[199:200]
	v_mul_f64 v[199:200], v[213:214], v[199:200]
	v_fma_f64 v[213:214], v[213:214], v[197:198], -v[5:6]
	s_delay_alu instid0(VALU_DEP_2) | instskip(SKIP_4) | instid1(VALU_DEP_2)
	;; [unrolled: 7-line block ×5, first 2 shown]
	v_fma_f64 v[227:228], v[227:228], v[197:198], v[199:200]
	global_load_b128 v[197:200], v[0:1], off offset:3776
	s_waitcnt vmcnt(0)
	v_mul_f64 v[0:1], v[231:232], v[199:200]
	v_mul_f64 v[5:6], v[229:230], v[199:200]
	v_fma_f64 v[229:230], v[229:230], v[197:198], -v[0:1]
	v_add_co_u32 v0, s0, 0x5000, v3
	s_delay_alu instid0(VALU_DEP_1) | instskip(NEXT) | instid1(VALU_DEP_4)
	v_add_co_ci_u32_e64 v1, s0, 0, v4, s0
	v_fma_f64 v[231:232], v[231:232], v[197:198], v[5:6]
	ds_load_b128 v[197:200], v192 offset:8640
	global_load_b128 v[3:6], v[0:1], off offset:400
	s_waitcnt vmcnt(0) lgkmcnt(0)
	v_mul_f64 v[233:234], v[199:200], v[5:6]
	v_mul_f64 v[5:6], v[197:198], v[5:6]
	s_delay_alu instid0(VALU_DEP_2) | instskip(NEXT) | instid1(VALU_DEP_2)
	v_fma_f64 v[197:198], v[197:198], v[3:4], -v[233:234]
	v_fma_f64 v[199:200], v[199:200], v[3:4], v[5:6]
	global_load_b128 v[3:6], v[0:1], off offset:1120
	ds_load_b128 v[233:236], v192 offset:9360
	s_waitcnt vmcnt(0) lgkmcnt(0)
	v_mul_f64 v[237:238], v[235:236], v[5:6]
	v_mul_f64 v[5:6], v[233:234], v[5:6]
	s_delay_alu instid0(VALU_DEP_2) | instskip(NEXT) | instid1(VALU_DEP_2)
	v_fma_f64 v[233:234], v[233:234], v[3:4], -v[237:238]
	v_fma_f64 v[235:236], v[235:236], v[3:4], v[5:6]
	global_load_b128 v[3:6], v[0:1], off offset:1840
	ds_load_b128 v[237:240], v192 offset:10080
	;; [unrolled: 8-line block ×4, first 2 shown]
	ds_store_b128 v192, v[201:204]
	ds_store_b128 v192, v[180:183] offset:720
	ds_store_b128 v192, v[184:187] offset:1440
	;; [unrolled: 1-line block ×11, first 2 shown]
	v_dual_mov_b32 v229, v10 :: v_dual_mov_b32 v228, v9
	ds_store_b128 v192, v[197:200] offset:8640
	ds_store_b128 v192, v[233:236] offset:9360
	v_dual_mov_b32 v236, v14 :: v_dual_mov_b32 v235, v13
	v_dual_mov_b32 v227, v8 :: v_dual_mov_b32 v226, v7
	;; [unrolled: 1-line block ×3, first 2 shown]
	s_waitcnt vmcnt(0) lgkmcnt(14)
	v_mul_f64 v[0:1], v[247:248], v[5:6]
	v_mul_f64 v[5:6], v[245:246], v[5:6]
	s_delay_alu instid0(VALU_DEP_2) | instskip(NEXT) | instid1(VALU_DEP_2)
	v_fma_f64 v[245:246], v[245:246], v[3:4], -v[0:1]
	v_fma_f64 v[247:248], v[247:248], v[3:4], v[5:6]
	ds_store_b128 v192, v[237:240] offset:10080
	ds_store_b128 v192, v[241:244] offset:10800
	;; [unrolled: 1-line block ×3, first 2 shown]
.LBB0_9:
	s_or_b32 exec_lo, exec_lo, s1
	s_waitcnt lgkmcnt(0)
	s_barrier
	buffer_gl0_inv
	s_and_saveexec_b32 s0, vcc_lo
	s_cbranch_execz .LBB0_11
; %bb.10:
	ds_load_b128 v[136:139], v192
	ds_load_b128 v[176:179], v192 offset:720
	ds_load_b128 v[172:175], v192 offset:1440
	;; [unrolled: 1-line block ×16, first 2 shown]
.LBB0_11:
	s_or_b32 exec_lo, exec_lo, s0
	v_add_nc_u32_e32 v182, 0x660, v2
	v_add_nc_u32_e32 v181, 0x990, v2
	;; [unrolled: 1-line block ×3, first 2 shown]
	s_waitcnt lgkmcnt(0)
	s_barrier
	buffer_gl0_inv
	s_and_saveexec_b32 s33, vcc_lo
	s_cbranch_execz .LBB0_13
; %bb.12:
	v_add_f64 v[243:244], v[176:177], -v[226:227]
	s_mov_b32 s22, 0xacd6c6b4
	s_mov_b32 s23, 0xbfc7851a
	v_dual_mov_b32 v240, v236 :: v_dual_mov_b32 v239, v235
	v_add_f64 v[241:242], v[178:179], -v[228:229]
	v_add_f64 v[46:47], v[148:149], -v[144:145]
	;; [unrolled: 1-line block ×3, first 2 shown]
	v_dual_mov_b32 v238, v234 :: v_dual_mov_b32 v237, v233
	v_add_f64 v[233:234], v[178:179], v[228:229]
	v_add_f64 v[26:27], v[168:169], -v[251:252]
	s_mov_b32 s42, 0x923c349f
	s_mov_b32 s28, 0x4363dd80
	;; [unrolled: 1-line block ×8, first 2 shown]
	s_clause 0x1
	scratch_store_b32 off, v180, off offset:432
	scratch_store_b32 off, v181, off offset:436
	v_add_f64 v[247:248], v[174:175], -v[239:240]
	v_add_f64 v[235:236], v[176:177], v[226:227]
	s_mov_b32 s30, 0x7c9e640b
	s_mov_b32 s36, 0x6c9a05f6
	;; [unrolled: 1-line block ×8, first 2 shown]
	v_add_f64 v[207:208], v[164:165], -v[124:125]
	v_add_f64 v[217:218], v[170:171], v[253:254]
	s_clause 0x1
	scratch_store_b32 off, v182, off offset:440
	scratch_store_b64 off, v[250:251], off offset:424
	v_add_f64 v[213:214], v[170:171], -v[253:254]
	v_add_f64 v[197:198], v[156:157], -v[132:133]
	s_mov_b32 s54, 0xeb564b22
	v_mul_f64 v[4:5], v[243:244], s[22:23]
	v_mul_f64 v[64:65], v[243:244], s[28:29]
	s_mov_b32 s24, 0xc61f0d01
	s_mov_b32 s20, 0x2b2883cd
	;; [unrolled: 1-line block ×3, first 2 shown]
	v_mul_f64 v[12:13], v[241:242], s[22:23]
	v_mul_f64 v[70:71], v[46:47], s[42:43]
	scratch_store_b128 off, v[226:229], off offset:444 ; 16-byte Folded Spill
	v_add_f64 v[225:226], v[174:175], v[239:240]
	v_mul_f64 v[245:246], v[28:29], s[26:27]
	v_dual_mov_b32 v101, v29 :: v_dual_mov_b32 v100, v28
	v_add_f64 v[229:230], v[172:173], v[237:238]
	v_mul_f64 v[88:89], v[241:242], s[28:29]
	v_mul_f64 v[16:17], v[241:242], s[36:37]
	;; [unrolled: 1-line block ×4, first 2 shown]
	s_mov_b32 s44, 0x2a9d6da3
	s_mov_b32 s55, 0x3fefdd0d
	;; [unrolled: 1-line block ×4, first 2 shown]
	v_mul_f64 v[80:81], v[247:248], s[26:27]
	s_mov_b32 s17, 0xbfe348c8
	s_mov_b32 s45, 0x3fe58eea
	;; [unrolled: 1-line block ×6, first 2 shown]
	v_add_f64 v[0:1], v[152:153], -v[140:141]
	v_add_f64 v[223:224], v[160:161], -v[128:129]
	v_add_f64 v[209:210], v[166:167], v[126:127]
	v_add_f64 v[2:3], v[154:155], -v[142:143]
	v_add_f64 v[201:202], v[166:167], -v[126:127]
	v_add_f64 v[221:222], v[168:169], v[251:252]
	v_add_f64 v[6:7], v[136:137], v[176:177]
	v_mul_f64 v[122:123], v[46:47], s[54:55]
	v_mul_f64 v[10:11], v[207:208], s[44:45]
	;; [unrolled: 1-line block ×3, first 2 shown]
	v_fma_f64 v[32:33], v[233:234], s[0:1], v[4:5]
	v_fma_f64 v[66:67], v[233:234], s[0:1], -v[4:5]
	v_add_f64 v[4:5], v[138:139], v[178:179]
	v_dual_mov_b32 v179, v27 :: v_dual_mov_b32 v178, v26
	v_fma_f64 v[44:45], v[235:236], s[0:1], -v[12:13]
	v_fma_f64 v[249:250], v[235:236], s[0:1], v[12:13]
	v_mul_f64 v[12:13], v[243:244], s[36:37]
	v_fma_f64 v[24:25], v[233:234], s[8:9], v[64:65]
	v_mul_f64 v[14:15], v[178:179], s[28:29]
	v_mul_f64 v[26:27], v[243:244], s[42:43]
	v_fma_f64 v[30:31], v[225:226], s[2:3], v[245:246]
	v_mul_f64 v[38:39], v[213:214], s[28:29]
	v_fma_f64 v[40:41], v[235:236], s[8:9], -v[88:89]
	v_fma_f64 v[46:47], v[233:234], s[8:9], -v[64:65]
	v_fma_f64 v[88:89], v[235:236], s[8:9], v[88:89]
	v_mul_f64 v[90:91], v[100:101], s[40:41]
	v_mul_f64 v[94:95], v[247:248], s[40:41]
	v_fma_f64 v[96:97], v[235:236], s[16:17], -v[16:17]
	v_mul_f64 v[98:99], v[100:101], s[46:47]
	v_dual_mov_b32 v121, v101 :: v_dual_mov_b32 v120, v100
	v_fma_f64 v[42:43], v[229:230], s[2:3], -v[80:81]
	v_fma_f64 v[80:81], v[229:230], s[2:3], v[80:81]
	v_mul_f64 v[100:101], v[247:248], s[46:47]
	v_fma_f64 v[16:17], v[235:236], s[16:17], v[16:17]
	v_fma_f64 v[108:109], v[235:236], s[24:25], -v[28:29]
	v_dual_mov_b32 v110, v197 :: v_dual_mov_b32 v111, v198
	s_mov_b32 s18, 0x75d4884
	s_mov_b32 s19, 0x3fe7a5f6
	;; [unrolled: 1-line block ×8, first 2 shown]
	v_add_f64 v[199:200], v[162:163], v[130:131]
	v_add_f64 v[32:33], v[138:139], v[32:33]
	;; [unrolled: 1-line block ×3, first 2 shown]
	v_mul_f64 v[193:194], v[0:1], s[42:43]
	v_mul_f64 v[8:9], v[223:224], s[36:37]
	;; [unrolled: 1-line block ×3, first 2 shown]
	v_add_f64 v[44:45], v[136:137], v[44:45]
	v_add_f64 v[82:83], v[136:137], v[249:250]
	v_fma_f64 v[92:93], v[233:234], s[16:17], v[12:13]
	v_fma_f64 v[102:103], v[233:234], s[16:17], -v[12:13]
	v_fma_f64 v[12:13], v[225:226], s[20:21], v[20:21]
	v_add_f64 v[24:25], v[138:139], v[24:25]
	v_fma_f64 v[104:105], v[217:218], s[8:9], v[14:15]
	v_fma_f64 v[106:107], v[233:234], s[24:25], v[26:27]
	v_mul_f64 v[34:35], v[201:202], s[44:45]
	scratch_store_b64 off, v[70:71], off offset:460 ; 8-byte Folded Spill
	v_fma_f64 v[64:65], v[225:226], s[2:3], -v[245:246]
	v_mul_f64 v[245:246], v[0:1], s[44:45]
	v_mul_f64 v[231:232], v[2:3], s[44:45]
	v_dual_mov_b32 v71, v3 :: v_dual_mov_b32 v70, v2
	v_mul_f64 v[86:87], v[213:214], s[34:35]
	v_mul_f64 v[249:250], v[0:1], s[22:23]
	v_dual_mov_b32 v69, v1 :: v_dual_mov_b32 v68, v0
	v_mul_f64 v[188:189], v[110:111], s[52:53]
	v_add_f64 v[40:41], v[136:137], v[40:41]
	v_fma_f64 v[112:113], v[221:222], s[8:9], -v[38:39]
	v_fma_f64 v[20:21], v[225:226], s[20:21], -v[20:21]
	v_mul_f64 v[116:117], v[213:214], s[38:39]
	v_add_f64 v[4:5], v[4:5], v[174:175]
	v_add_f64 v[6:7], v[6:7], v[172:173]
	;; [unrolled: 1-line block ×3, first 2 shown]
	v_mul_f64 v[172:173], v[213:214], s[44:45]
	v_fma_f64 v[174:175], v[225:226], s[24:25], v[90:91]
	v_fma_f64 v[0:1], v[229:230], s[24:25], -v[94:95]
	v_add_f64 v[96:97], v[136:137], v[96:97]
	v_fma_f64 v[90:91], v[225:226], s[24:25], -v[90:91]
	v_fma_f64 v[94:95], v[229:230], s[24:25], v[94:95]
	v_add_f64 v[30:31], v[30:31], v[32:33]
	v_dual_mov_b32 v32, v110 :: v_dual_mov_b32 v33, v111
	v_fma_f64 v[110:111], v[229:230], s[20:21], -v[36:37]
	v_fma_f64 v[36:37], v[229:230], s[20:21], v[36:37]
	v_add_f64 v[42:43], v[42:43], v[44:45]
	v_add_f64 v[44:45], v[138:139], v[46:47]
	v_fma_f64 v[46:47], v[217:218], s[8:9], -v[14:15]
	v_mul_f64 v[14:15], v[178:179], s[38:39]
	v_add_f64 v[80:81], v[80:81], v[82:83]
	v_mul_f64 v[82:83], v[178:179], s[44:45]
	v_add_f64 v[92:93], v[138:139], v[92:93]
	v_add_f64 v[102:103], v[138:139], v[102:103]
	v_fma_f64 v[2:3], v[225:226], s[8:9], v[98:99]
	v_add_f64 v[16:17], v[136:137], v[16:17]
	v_add_f64 v[12:13], v[12:13], v[24:25]
	v_fma_f64 v[24:25], v[229:230], s[8:9], -v[100:101]
	v_add_f64 v[106:107], v[138:139], v[106:107]
	v_add_f64 v[108:109], v[136:137], v[108:109]
	s_mov_b32 s10, 0x3259b75e
	s_mov_b32 s11, 0x3fb79ee6
	;; [unrolled: 1-line block ×6, first 2 shown]
	v_add_f64 v[190:191], v[158:159], v[134:135]
	v_add_f64 v[219:220], v[162:163], -v[130:131]
	v_mul_f64 v[18:19], v[197:198], s[30:31]
	v_mul_f64 v[84:85], v[201:202], s[50:51]
	;; [unrolled: 1-line block ×3, first 2 shown]
	v_add_f64 v[184:185], v[154:155], v[142:143]
	v_add_f64 v[22:23], v[150:151], -v[146:147]
	v_add_f64 v[203:204], v[160:161], v[128:129]
	v_add_f64 v[6:7], v[6:7], v[168:169]
	;; [unrolled: 1-line block ×4, first 2 shown]
	v_fma_f64 v[96:97], v[221:222], s[2:3], -v[116:117]
	v_fma_f64 v[116:117], v[221:222], s[2:3], v[116:117]
	v_add_f64 v[30:31], v[104:105], v[30:31]
	v_fma_f64 v[104:105], v[209:210], s[18:19], v[10:11]
	v_mul_f64 v[74:75], v[178:179], s[34:35]
	v_add_f64 v[40:41], v[110:111], v[40:41]
	v_fma_f64 v[110:111], v[211:212], s[18:19], -v[34:35]
	v_add_f64 v[42:43], v[112:113], v[42:43]
	v_add_f64 v[20:21], v[20:21], v[44:45]
	v_fma_f64 v[44:45], v[221:222], s[10:11], -v[86:87]
	v_add_f64 v[36:37], v[36:37], v[88:89]
	v_mul_f64 v[88:89], v[201:202], s[28:29]
	v_fma_f64 v[86:87], v[221:222], s[10:11], v[86:87]
	v_add_f64 v[92:93], v[174:175], v[92:93]
	v_fma_f64 v[174:175], v[217:218], s[2:3], v[14:15]
	v_fma_f64 v[14:15], v[217:218], s[2:3], -v[14:15]
	v_add_f64 v[90:91], v[90:91], v[102:103]
	v_mul_f64 v[102:103], v[207:208], s[48:49]
	v_add_f64 v[16:17], v[94:95], v[16:17]
	v_add_f64 v[2:3], v[2:3], v[106:107]
	v_fma_f64 v[106:107], v[217:218], s[18:19], v[82:83]
	v_add_f64 v[24:25], v[24:25], v[108:109]
	v_fma_f64 v[108:109], v[221:222], s[18:19], -v[172:173]
	v_mul_f64 v[72:73], v[207:208], s[50:51]
	v_fma_f64 v[26:27], v[233:234], s[24:25], -v[26:27]
	v_fma_f64 v[118:119], v[235:236], s[24:25], v[28:29]
	v_mul_f64 v[28:29], v[243:244], s[34:35]
	v_fma_f64 v[38:39], v[221:222], s[8:9], v[38:39]
	v_mul_f64 v[78:79], v[219:220], s[38:39]
	v_add_f64 v[205:206], v[158:159], -v[134:135]
	v_mul_f64 v[76:77], v[223:224], s[38:39]
	v_fma_f64 v[98:99], v[225:226], s[8:9], -v[98:99]
	v_fma_f64 v[34:35], v[211:212], s[18:19], v[34:35]
	v_mul_f64 v[22:23], v[22:23], s[54:55]
	v_add_f64 v[195:196], v[156:157], v[132:133]
	v_add_f64 v[164:165], v[6:7], v[164:165]
	;; [unrolled: 1-line block ×3, first 2 shown]
	v_mul_f64 v[227:228], v[197:198], s[22:23]
	v_add_f64 v[0:1], v[96:97], v[0:1]
	v_mul_f64 v[66:67], v[223:224], s[54:55]
	v_fma_f64 v[10:11], v[209:210], s[18:19], -v[10:11]
	v_add_f64 v[30:31], v[104:105], v[30:31]
	v_fma_f64 v[104:105], v[199:200], s[16:17], v[8:9]
	v_fma_f64 v[112:113], v[217:218], s[10:11], v[74:75]
	v_fma_f64 v[74:75], v[217:218], s[10:11], -v[74:75]
	v_add_f64 v[42:43], v[110:111], v[42:43]
	v_mul_f64 v[110:111], v[219:220], s[54:55]
	v_add_f64 v[40:41], v[44:45], v[40:41]
	v_fma_f64 v[44:45], v[211:212], s[16:17], -v[84:85]
	v_fma_f64 v[84:85], v[211:212], s[16:17], v[84:85]
	v_add_f64 v[36:37], v[86:87], v[36:37]
	v_mul_f64 v[86:87], v[223:224], s[22:23]
	v_add_f64 v[92:93], v[174:175], v[92:93]
	v_fma_f64 v[174:175], v[209:210], s[8:9], v[114:115]
	v_fma_f64 v[96:97], v[211:212], s[8:9], -v[88:89]
	v_add_f64 v[14:15], v[14:15], v[90:91]
	v_fma_f64 v[114:115], v[209:210], s[8:9], -v[114:115]
	v_fma_f64 v[88:89], v[211:212], s[8:9], v[88:89]
	v_add_f64 v[16:17], v[116:117], v[16:17]
	v_add_f64 v[2:3], v[106:107], v[2:3]
	v_fma_f64 v[106:107], v[209:210], s[20:21], v[102:103]
	v_add_f64 v[24:25], v[108:109], v[24:25]
	v_fma_f64 v[108:109], v[190:191], s[20:21], v[18:19]
	;; [unrolled: 2-line block ×3, first 2 shown]
	v_add_f64 v[38:39], v[38:39], v[80:81]
	v_add_f64 v[186:187], v[152:153], v[140:141]
	v_mul_f64 v[176:177], v[205:206], s[30:31]
	v_add_f64 v[4:5], v[4:5], v[170:171]
	scratch_store_b64 off, v[70:71], off offset:580 ; 8-byte Folded Spill
	v_mul_f64 v[80:81], v[70:71], s[22:23]
	v_mul_f64 v[170:171], v[205:206], s[52:53]
	v_fma_f64 v[8:9], v[199:200], s[16:17], -v[8:9]
	v_mul_f64 v[90:91], v[70:71], s[38:39]
	v_add_f64 v[46:47], v[46:47], v[64:65]
	v_mul_f64 v[64:65], v[120:121], s[22:23]
	v_fma_f64 v[70:71], v[199:200], s[2:3], -v[76:77]
	v_fma_f64 v[18:19], v[190:191], s[20:21], -v[18:19]
	;; [unrolled: 1-line block ×4, first 2 shown]
	v_add_f64 v[30:31], v[104:105], v[30:31]
	v_add_f64 v[12:13], v[112:113], v[12:13]
	v_fma_f64 v[112:113], v[209:210], s[16:17], v[72:73]
	v_add_f64 v[20:21], v[74:75], v[20:21]
	v_fma_f64 v[72:73], v[209:210], s[16:17], -v[72:73]
	v_add_f64 v[182:183], v[148:149], v[144:145]
	v_add_f64 v[40:41], v[44:45], v[40:41]
	v_fma_f64 v[44:45], v[203:204], s[2:3], -v[78:79]
	v_add_f64 v[36:37], v[84:85], v[36:37]
	v_fma_f64 v[100:101], v[229:230], s[8:9], v[100:101]
	v_add_f64 v[118:119], v[136:137], v[118:119]
	v_add_f64 v[84:85], v[174:175], v[92:93]
	v_fma_f64 v[92:93], v[184:185], s[24:25], v[193:194]
	v_add_f64 v[0:1], v[96:97], v[0:1]
	;; [unrolled: 3-line block ×3, first 2 shown]
	v_fma_f64 v[114:115], v[199:200], s[0:1], v[86:87]
	v_add_f64 v[2:3], v[106:107], v[2:3]
	v_fma_f64 v[86:87], v[199:200], s[0:1], -v[86:87]
	v_mul_f64 v[94:95], v[201:202], s[48:49]
	v_add_f64 v[26:27], v[98:99], v[26:27]
	v_add_f64 v[168:169], v[138:139], v[168:169]
	;; [unrolled: 1-line block ×3, first 2 shown]
	v_fma_f64 v[88:89], v[186:187], s[24:25], -v[215:216]
	v_mul_f64 v[197:198], v[205:206], s[22:23]
	v_add_f64 v[4:5], v[4:5], v[166:167]
	v_mul_f64 v[116:117], v[219:220], s[22:23]
	v_fma_f64 v[172:173], v[221:222], s[18:19], v[172:173]
	v_add_f64 v[180:181], v[150:151], v[146:147]
	v_add_f64 v[174:175], v[150:151], -v[146:147]
	v_mul_f64 v[6:7], v[223:224], s[48:49]
	v_add_f64 v[10:11], v[10:11], v[46:47]
	v_fma_f64 v[74:75], v[225:226], s[0:1], v[64:65]
	v_fma_f64 v[28:29], v[233:234], s[10:11], -v[28:29]
	v_fma_f64 v[64:65], v[225:226], s[0:1], -v[64:65]
	v_add_f64 v[30:31], v[108:109], v[30:31]
	v_add_f64 v[12:13], v[112:113], v[12:13]
	v_fma_f64 v[112:113], v[199:200], s[2:3], v[76:77]
	v_add_f64 v[20:21], v[72:73], v[20:21]
	v_fma_f64 v[76:77], v[195:196], s[18:19], -v[170:171]
	v_mul_f64 v[72:73], v[205:206], s[54:55]
	v_add_f64 v[40:41], v[44:45], v[40:41]
	v_add_f64 v[44:45], v[164:165], v[160:161]
	;; [unrolled: 1-line block ×3, first 2 shown]
	v_mul_f64 v[100:101], v[178:179], s[40:41]
	v_add_f64 v[16:17], v[96:97], v[16:17]
	v_add_f64 v[96:97], v[114:115], v[2:3]
	v_fma_f64 v[104:105], v[211:212], s[20:21], -v[94:95]
	v_add_f64 v[26:27], v[82:83], v[26:27]
	v_fma_f64 v[82:83], v[211:212], s[20:21], v[94:95]
	v_fma_f64 v[106:107], v[203:204], s[0:1], -v[116:117]
	v_add_f64 v[10:11], v[8:9], v[10:11]
	v_add_f64 v[74:75], v[74:75], v[168:169]
	v_fma_f64 v[168:169], v[203:204], s[10:11], -v[110:111]
	v_fma_f64 v[110:111], v[190:191], s[0:1], v[227:228]
	v_mul_f64 v[8:9], v[207:208], s[26:27]
	v_add_f64 v[28:29], v[138:139], v[28:29]
	v_add_f64 v[2:3], v[92:93], v[30:31]
	scratch_store_b64 off, v[22:23], off offset:468 ; 8-byte Folded Spill
	scratch_load_b64 v[160:161], off, off offset:468 ; 8-byte Folded Reload
	v_mul_f64 v[22:23], v[219:220], s[36:37]
	v_add_f64 v[12:13], v[112:113], v[12:13]
	v_add_f64 v[20:21], v[70:71], v[20:21]
	v_fma_f64 v[112:113], v[186:187], s[24:25], v[215:216]
	v_fma_f64 v[114:115], v[195:196], s[10:11], -v[72:73]
	v_fma_f64 v[92:93], v[184:185], s[18:19], -v[245:246]
	v_fma_f64 v[30:31], v[203:204], s[0:1], v[116:117]
	v_add_f64 v[94:95], v[172:173], v[118:119]
	v_fma_f64 v[118:119], v[190:191], s[0:1], -v[227:228]
	v_fma_f64 v[166:167], v[217:218], s[24:25], v[100:101]
	v_fma_f64 v[72:73], v[195:196], s[10:11], v[72:73]
	v_mul_f64 v[116:117], v[213:214], s[48:49]
	v_fma_f64 v[227:228], v[180:181], s[10:11], v[122:123]
	v_add_f64 v[24:25], v[104:105], v[24:25]
	v_add_f64 v[26:27], v[102:103], v[26:27]
	v_fma_f64 v[102:103], v[184:185], s[0:1], -v[249:250]
	v_fma_f64 v[104:105], v[195:196], s[0:1], -v[197:198]
	v_add_f64 v[10:11], v[18:19], v[10:11]
	v_add_f64 v[18:19], v[4:5], v[162:163]
	;; [unrolled: 1-line block ×3, first 2 shown]
	v_add_f64 v[168:169], v[148:149], -v[144:145]
	v_fma_f64 v[108:109], v[209:210], s[2:3], v[8:9]
	v_add_f64 v[28:29], v[64:65], v[28:29]
	v_fma_f64 v[8:9], v[209:210], s[2:3], -v[8:9]
	v_fma_f64 v[98:99], v[203:204], s[16:17], -v[22:23]
	v_fma_f64 v[22:23], v[203:204], s[16:17], v[22:23]
	v_add_f64 v[12:13], v[110:111], v[12:13]
	v_add_f64 v[20:21], v[118:119], v[20:21]
	;; [unrolled: 1-line block ×5, first 2 shown]
	v_mul_f64 v[106:107], v[213:214], s[36:37]
	v_add_f64 v[40:41], v[104:105], v[40:41]
	v_mul_f64 v[104:105], v[178:179], s[36:37]
	v_add_f64 v[76:77], v[76:77], v[0:1]
	v_add_f64 v[42:43], v[98:99], v[42:43]
	v_fma_f64 v[98:99], v[195:196], s[20:21], -v[176:177]
	v_add_f64 v[22:23], v[22:23], v[34:35]
	v_fma_f64 v[34:35], v[203:204], s[2:3], v[78:79]
	v_fma_f64 v[78:79], v[199:200], s[10:11], v[66:67]
	v_fma_f64 v[66:67], v[199:200], s[10:11], -v[66:67]
	v_add_f64 v[74:75], v[108:109], v[74:75]
	v_mul_f64 v[108:109], v[178:179], s[48:49]
	v_add_f64 v[24:25], v[114:115], v[24:25]
	v_add_f64 v[42:43], v[98:99], v[42:43]
	v_fma_f64 v[98:99], v[184:185], s[24:25], -v[193:194]
	v_add_f64 v[34:35], v[34:35], v[36:37]
	v_add_f64 v[70:71], v[78:79], v[84:85]
	v_fma_f64 v[78:79], v[184:185], s[18:19], v[245:246]
	v_add_f64 v[14:15], v[66:67], v[14:15]
	v_fma_f64 v[66:67], v[195:196], s[18:19], v[170:171]
	v_fma_f64 v[36:37], v[190:191], s[18:19], v[188:189]
	v_mul_f64 v[245:246], v[174:175], s[36:37]
	v_add_f64 v[0:1], v[78:79], v[12:13]
	scratch_store_b64 off, v[2:3], off offset:516 ; 8-byte Folded Spill
	v_add_f64 v[2:3], v[88:89], v[42:43]
	scratch_store_b64 off, v[201:202], off offset:564 ; 8-byte Folded Spill
	v_dual_mov_b32 v202, v69 :: v_dual_mov_b32 v201, v68
	v_fma_f64 v[68:69], v[195:196], s[20:21], v[176:177]
	v_add_f64 v[16:17], v[66:67], v[16:17]
	v_add_f64 v[36:37], v[36:37], v[70:71]
	v_mul_f64 v[70:71], v[174:175], s[30:31]
	v_mul_f64 v[46:47], v[201:202], s[38:39]
	;; [unrolled: 1-line block ×3, first 2 shown]
	v_add_f64 v[42:43], v[82:83], v[94:95]
	v_fma_f64 v[88:89], v[186:187], s[18:19], -v[231:232]
	v_fma_f64 v[94:95], v[184:185], s[0:1], v[249:250]
	v_mul_f64 v[12:13], v[243:244], s[48:49]
	v_mul_f64 v[82:83], v[174:175], s[42:43]
	v_dual_mov_b32 v176, v205 :: v_dual_mov_b32 v177, v206
	scratch_store_b64 off, v[0:1], off offset:556 ; 8-byte Folded Spill
	v_add_f64 v[0:1], v[92:93], v[20:21]
	scratch_store_b64 off, v[2:3], off offset:524 ; 8-byte Folded Spill
	v_add_f64 v[2:3], v[98:99], v[10:11]
	scratch_store_b64 off, v[120:121], off offset:572 ; 8-byte Folded Spill
	v_dual_mov_b32 v121, v33 :: v_dual_mov_b32 v120, v32
	v_add_f64 v[10:11], v[18:19], v[158:159]
	v_add_f64 v[18:19], v[44:45], v[156:157]
	v_add_f64 v[22:23], v[68:69], v[22:23]
	v_fma_f64 v[68:69], v[195:196], s[0:1], v[197:198]
	v_mul_f64 v[38:39], v[120:121], s[54:55]
	v_fma_f64 v[32:33], v[190:191], s[18:19], -v[188:189]
	v_fma_f64 v[98:99], v[186:187], s[0:1], -v[80:81]
	v_mul_f64 v[20:21], v[241:242], s[38:39]
	v_fma_f64 v[44:45], v[199:200], s[20:21], v[6:7]
	v_add_f64 v[30:31], v[30:31], v[42:43]
	v_add_f64 v[215:216], v[88:89], v[40:41]
	v_mul_f64 v[40:41], v[243:244], s[52:53]
	v_add_f64 v[164:165], v[94:95], v[36:37]
	v_fma_f64 v[166:167], v[182:183], s[20:21], -v[70:71]
	v_fma_f64 v[156:157], v[186:187], s[2:3], v[90:91]
	v_mul_f64 v[88:89], v[213:214], s[40:41]
	v_fma_f64 v[188:189], v[182:183], s[24:25], -v[82:83]
	v_fma_f64 v[6:7], v[199:200], s[20:21], -v[6:7]
	v_dual_mov_b32 v206, v121 :: v_dual_mov_b32 v205, v120
	v_fma_f64 v[249:250], v[184:185], s[2:3], -v[46:47]
	scratch_store_b64 off, v[2:3], off offset:532 ; 8-byte Folded Spill
	v_add_f64 v[10:11], v[10:11], v[154:155]
	v_add_f64 v[18:19], v[18:19], v[152:153]
	v_add_f64 v[34:35], v[68:69], v[34:35]
	v_fma_f64 v[84:85], v[190:191], s[10:11], v[38:39]
	v_fma_f64 v[38:39], v[190:191], s[10:11], -v[38:39]
	v_add_f64 v[14:15], v[32:33], v[14:15]
	v_fma_f64 v[32:33], v[186:187], s[0:1], v[80:81]
	v_fma_f64 v[80:81], v[184:185], s[2:3], v[46:47]
	v_mul_f64 v[68:69], v[168:169], s[30:31]
	v_add_f64 v[44:45], v[44:45], v[74:75]
	v_mul_f64 v[74:75], v[243:244], s[38:39]
	v_add_f64 v[152:153], v[72:73], v[30:31]
	v_fma_f64 v[72:73], v[235:236], s[2:3], v[20:21]
	v_fma_f64 v[20:21], v[235:236], s[2:3], -v[20:21]
	v_fma_f64 v[30:31], v[233:234], s[20:21], -v[12:13]
	v_fma_f64 v[12:13], v[233:234], s[20:21], v[12:13]
	v_fma_f64 v[243:244], v[182:183], s[24:25], v[82:83]
	;; [unrolled: 1-line block ×3, first 2 shown]
	v_add_f64 v[10:11], v[10:11], v[150:151]
	v_add_f64 v[18:19], v[18:19], v[148:149]
	s_clause 0x2
	scratch_load_b64 v[148:149], off, off offset:564
	scratch_load_b64 v[86:87], off, off offset:460
	;; [unrolled: 1-line block ×3, first 2 shown]
	v_add_f64 v[154:155], v[38:39], v[26:27]
	scratch_load_b64 v[38:39], off, off offset:572 ; 8-byte Folded Reload
	v_add_f64 v[84:85], v[84:85], v[96:97]
	v_fma_f64 v[96:97], v[186:187], s[2:3], -v[90:91]
	v_add_f64 v[158:159], v[102:103], v[14:15]
	v_fma_f64 v[14:15], v[182:183], s[20:21], v[70:71]
	v_fma_f64 v[170:171], v[180:181], s[20:21], v[68:69]
	v_fma_f64 v[162:163], v[180:181], s[20:21], -v[68:69]
	v_mul_f64 v[68:69], v[247:248], s[34:35]
	v_mul_f64 v[70:71], v[247:248], s[52:53]
	v_add_f64 v[72:73], v[136:137], v[72:73]
	v_add_f64 v[20:21], v[136:137], v[20:21]
	;; [unrolled: 1-line block ×6, first 2 shown]
	v_fma_f64 v[146:147], v[217:218], s[20:21], -v[108:109]
	s_waitcnt vmcnt(4)
	v_fma_f64 v[2:3], v[182:183], s[10:11], v[160:161]
	v_fma_f64 v[4:5], v[182:183], s[10:11], -v[160:161]
	v_add_f64 v[160:161], v[98:99], v[76:77]
	v_mul_f64 v[76:77], v[174:175], s[44:45]
	v_add_f64 v[24:25], v[96:97], v[24:25]
	v_fma_f64 v[114:115], v[229:230], s[18:19], v[70:71]
	v_fma_f64 v[70:71], v[229:230], s[18:19], -v[70:71]
	v_add_f64 v[10:11], v[10:11], v[142:143]
	v_add_f64 v[18:19], v[18:19], v[140:141]
	v_mul_f64 v[142:143], v[207:208], s[34:35]
	scratch_store_b64 off, v[2:3], off offset:540 ; 8-byte Folded Spill
	v_add_f64 v[2:3], v[112:113], v[22:23]
	v_fma_f64 v[22:23], v[186:187], s[18:19], v[231:232]
	v_fma_f64 v[112:113], v[229:230], s[10:11], v[68:69]
	v_fma_f64 v[68:69], v[229:230], s[10:11], -v[68:69]
	scratch_store_b64 off, v[24:25], off offset:484 ; 8-byte Folded Spill
	v_fma_f64 v[24:25], v[235:236], s[10:11], v[66:67]
	v_add_f64 v[72:73], v[114:115], v[72:73]
	v_add_f64 v[20:21], v[70:71], v[20:21]
	v_fma_f64 v[114:115], v[221:222], s[20:21], v[116:117]
	v_add_f64 v[10:11], v[10:11], v[134:135]
	v_add_f64 v[18:19], v[18:19], v[132:133]
	v_mul_f64 v[132:133], v[176:177], s[36:37]
	scratch_store_b64 off, v[2:3], off offset:548 ; 8-byte Folded Spill
	v_mul_f64 v[2:3], v[168:169], s[36:37]
	v_add_f64 v[172:173], v[22:23], v[34:35]
	v_mul_f64 v[22:23], v[241:242], s[52:53]
	v_mul_f64 v[34:35], v[241:242], s[48:49]
	v_add_f64 v[241:242], v[32:33], v[16:17]
	v_fma_f64 v[16:17], v[235:236], s[10:11], -v[66:67]
	v_add_f64 v[24:25], v[136:137], v[24:25]
	v_add_f64 v[72:73], v[114:115], v[72:73]
	v_dual_mov_b32 v114, v205 :: v_dual_mov_b32 v115, v206
	s_delay_alu instid0(VALU_DEP_1)
	v_mul_f64 v[114:115], v[114:115], s[36:37]
	v_add_f64 v[10:11], v[10:11], v[130:131]
	v_add_f64 v[18:19], v[18:19], v[128:129]
	v_fma_f64 v[32:33], v[180:181], s[16:17], v[2:3]
	v_fma_f64 v[2:3], v[180:181], s[16:17], -v[2:3]
	v_fma_f64 v[78:79], v[235:236], s[18:19], v[22:23]
	v_fma_f64 v[22:23], v[235:236], s[18:19], -v[22:23]
	v_add_f64 v[16:17], v[136:137], v[16:17]
	v_add_f64 v[10:11], v[10:11], v[126:127]
	v_add_f64 v[18:19], v[18:19], v[124:125]
	scratch_store_b64 off, v[32:33], off offset:460 ; 8-byte Folded Spill
	v_add_f64 v[32:33], v[80:81], v[84:85]
	scratch_store_b64 off, v[14:15], off offset:492 ; 8-byte Folded Spill
	v_mul_f64 v[14:15], v[247:248], s[22:23]
	v_fma_f64 v[80:81], v[235:236], s[20:21], v[34:35]
	v_fma_f64 v[34:35], v[235:236], s[20:21], -v[34:35]
	v_add_f64 v[78:79], v[136:137], v[78:79]
	v_add_f64 v[22:23], v[136:137], v[22:23]
	v_mul_f64 v[84:85], v[176:177], s[28:29]
	v_add_f64 v[10:11], v[10:11], v[253:254]
	v_add_f64 v[18:19], v[18:19], v[251:252]
	scratch_store_b64 off, v[32:33], off offset:468 ; 8-byte Folded Spill
	v_fma_f64 v[32:33], v[182:183], s[16:17], -v[245:246]
	scratch_store_b64 off, v[4:5], off offset:500 ; 8-byte Folded Spill
	v_fma_f64 v[4:5], v[180:181], s[10:11], -v[122:123]
	v_fma_f64 v[90:91], v[229:230], s[0:1], -v[14:15]
	v_add_f64 v[80:81], v[136:137], v[80:81]
	v_add_f64 v[34:35], v[136:137], v[34:35]
	v_fma_f64 v[136:137], v[221:222], s[24:25], -v[88:89]
	v_mul_f64 v[122:123], v[201:202], s[50:51]
	v_fma_f64 v[14:15], v[229:230], s[0:1], v[14:15]
	v_add_f64 v[22:23], v[68:69], v[22:23]
	v_fma_f64 v[68:69], v[217:218], s[20:21], v[108:109]
	v_mul_f64 v[88:89], v[207:208], s[40:41]
	v_add_f64 v[78:79], v[112:113], v[78:79]
	v_mul_f64 v[108:109], v[219:220], s[46:47]
	v_add_f64 v[10:11], v[10:11], v[239:240]
	v_add_f64 v[18:19], v[18:19], v[237:238]
	scratch_store_b64 off, v[32:33], off offset:476 ; 8-byte Folded Spill
	v_mul_f64 v[32:33], v[247:248], s[36:37]
	scratch_store_b64 off, v[4:5], off offset:508 ; 8-byte Folded Spill
	v_mul_f64 v[4:5], v[120:121], s[28:29]
	v_add_f64 v[16:17], v[90:91], v[16:17]
	v_fma_f64 v[90:91], v[217:218], s[24:25], -v[100:101]
	v_mul_f64 v[120:121], v[168:169], s[44:45]
	v_fma_f64 v[46:47], v[184:185], s[16:17], v[122:123]
	v_add_f64 v[14:15], v[14:15], v[24:25]
	v_fma_f64 v[98:99], v[229:230], s[16:17], v[32:33]
	v_fma_f64 v[32:33], v[229:230], s[16:17], -v[32:33]
	v_fma_f64 v[42:43], v[190:191], s[8:9], v[4:5]
	v_add_f64 v[16:17], v[136:137], v[16:17]
	v_add_f64 v[28:29], v[90:91], v[28:29]
	v_fma_f64 v[4:5], v[190:191], s[8:9], -v[4:5]
	v_fma_f64 v[136:137], v[209:210], s[10:11], -v[142:143]
	v_add_f64 v[14:15], v[64:65], v[14:15]
	v_fma_f64 v[64:65], v[209:210], s[24:25], v[88:89]
	s_waitcnt vmcnt(3)
	v_mul_f64 v[118:119], v[148:149], s[26:27]
	s_waitcnt vmcnt(2)
	v_fma_f64 v[231:232], v[180:181], s[24:25], v[86:87]
	s_waitcnt vmcnt(1)
	v_mul_f64 v[82:83], v[150:151], s[50:51]
	s_mov_b32 s51, 0x3fc7851a
	s_waitcnt vmcnt(0)
	v_dual_mov_b32 v67, v39 :: v_dual_mov_b32 v66, v38
	v_mul_f64 v[26:27], v[38:39], s[36:37]
	v_mul_f64 v[36:37], v[38:39], s[34:35]
	v_fma_f64 v[38:39], v[233:234], s[18:19], -v[40:41]
	v_fma_f64 v[40:41], v[233:234], s[18:19], v[40:41]
	s_mov_b32 s50, s22
	v_fma_f64 v[193:194], v[180:181], s[24:25], -v[86:87]
	v_mul_f64 v[86:87], v[219:220], s[48:49]
	v_mul_f64 v[92:93], v[178:179], s[50:51]
	;; [unrolled: 1-line block ×5, first 2 shown]
	scratch_load_b32 v213, off, off         ; 4-byte Folded Reload
	v_add_f64 v[80:81], v[98:99], v[80:81]
	v_add_f64 v[32:33], v[32:33], v[34:35]
	v_add_f64 v[42:43], v[42:43], v[44:45]
	v_mul_f64 v[44:45], v[66:67], s[52:53]
	v_fma_f64 v[66:67], v[233:234], s[2:3], -v[74:75]
	v_fma_f64 v[74:75], v[233:234], s[2:3], v[74:75]
	v_fma_f64 v[34:35], v[217:218], s[16:17], v[104:105]
	v_add_f64 v[8:9], v[8:9], v[28:29]
	v_fma_f64 v[98:99], v[209:210], s[24:25], -v[88:89]
	v_fma_f64 v[70:71], v[211:212], s[2:3], -v[118:119]
	v_fma_f64 v[90:91], v[211:212], s[2:3], v[118:119]
	v_mul_f64 v[118:119], v[219:220], s[42:43]
	v_fma_f64 v[96:97], v[225:226], s[16:17], -v[26:27]
	v_fma_f64 v[102:103], v[225:226], s[10:11], -v[36:37]
	v_fma_f64 v[36:37], v[225:226], s[10:11], v[36:37]
	v_add_f64 v[40:41], v[138:139], v[40:41]
	v_add_f64 v[38:39], v[138:139], v[38:39]
	v_fma_f64 v[26:27], v[225:226], s[16:17], v[26:27]
	v_fma_f64 v[28:29], v[203:204], s[20:21], v[86:87]
	v_fma_f64 v[24:25], v[217:218], s[0:1], v[92:93]
	v_fma_f64 v[140:141], v[221:222], s[0:1], v[94:95]
	v_fma_f64 v[110:111], v[225:226], s[18:19], -v[44:45]
	v_add_f64 v[66:67], v[138:139], v[66:67]
	v_fma_f64 v[44:45], v[225:226], s[18:19], v[44:45]
	v_add_f64 v[74:75], v[138:139], v[74:75]
	v_fma_f64 v[138:139], v[217:218], s[0:1], -v[92:93]
	v_add_f64 v[6:7], v[6:7], v[8:9]
	v_mul_f64 v[92:93], v[223:224], s[44:45]
	v_add_f64 v[16:17], v[70:71], v[16:17]
	v_fma_f64 v[8:9], v[195:196], s[8:9], v[84:85]
	v_add_f64 v[14:15], v[90:91], v[14:15]
	v_add_f64 v[30:31], v[96:97], v[30:31]
	v_mul_f64 v[96:97], v[207:208], s[22:23]
	v_add_f64 v[36:37], v[36:37], v[40:41]
	v_fma_f64 v[40:41], v[221:222], s[16:17], -v[106:107]
	v_add_f64 v[38:39], v[102:103], v[38:39]
	v_fma_f64 v[102:103], v[217:218], s[16:17], -v[104:105]
	;; [unrolled: 2-line block ×3, first 2 shown]
	v_mul_f64 v[94:95], v[219:220], s[44:45]
	v_fma_f64 v[104:105], v[211:212], s[24:25], v[100:101]
	v_add_f64 v[80:81], v[140:141], v[80:81]
	v_add_f64 v[140:141], v[156:157], v[152:153]
	;; [unrolled: 1-line block ×3, first 2 shown]
	v_mul_f64 v[110:111], v[148:149], s[34:35]
	v_add_f64 v[44:45], v[44:45], v[74:75]
	v_fma_f64 v[74:75], v[221:222], s[20:21], -v[116:117]
	v_mul_f64 v[116:117], v[223:224], s[42:43]
	v_fma_f64 v[148:149], v[221:222], s[16:17], v[106:107]
	v_mul_f64 v[106:107], v[223:224], s[46:47]
	v_add_f64 v[4:5], v[4:5], v[6:7]
	v_fma_f64 v[88:89], v[199:200], s[18:19], -v[92:93]
	v_fma_f64 v[90:91], v[199:200], s[18:19], v[92:93]
	v_fma_f64 v[6:7], v[186:187], s[16:17], v[82:83]
	v_add_f64 v[14:15], v[28:29], v[14:15]
	v_add_f64 v[30:31], v[138:139], v[30:31]
	v_fma_f64 v[112:113], v[209:210], s[0:1], -v[96:97]
	v_add_f64 v[34:35], v[34:35], v[36:37]
	v_fma_f64 v[36:37], v[211:212], s[0:1], -v[144:145]
	v_add_f64 v[22:23], v[40:41], v[22:23]
	v_fma_f64 v[40:41], v[209:210], s[10:11], v[142:143]
	v_add_f64 v[38:39], v[102:103], v[38:39]
	v_add_f64 v[12:13], v[24:25], v[12:13]
	v_fma_f64 v[24:25], v[211:212], s[24:25], -v[100:101]
	v_add_f64 v[26:27], v[26:27], v[32:33]
	v_fma_f64 v[32:33], v[209:210], s[0:1], v[96:97]
	v_dual_mov_b32 v100, v205 :: v_dual_mov_b32 v101, v206
	v_fma_f64 v[102:103], v[211:212], s[0:1], v[144:145]
	v_add_f64 v[80:81], v[104:105], v[80:81]
	v_dual_mov_b32 v104, v150 :: v_dual_mov_b32 v105, v151
	s_delay_alu instid0(VALU_DEP_4)
	v_mul_f64 v[70:71], v[100:101], s[38:39]
	v_fma_f64 v[96:97], v[203:204], s[18:19], v[94:95]
	v_fma_f64 v[144:145], v[182:183], s[18:19], v[76:77]
	v_add_f64 v[66:67], v[146:147], v[66:67]
	v_fma_f64 v[138:139], v[211:212], s[10:11], v[110:111]
	v_add_f64 v[44:45], v[68:69], v[44:45]
	v_fma_f64 v[68:69], v[211:212], s[10:11], -v[110:111]
	v_add_f64 v[20:21], v[74:75], v[20:21]
	v_fma_f64 v[74:75], v[203:204], s[20:21], -v[86:87]
	;; [unrolled: 2-line block ×3, first 2 shown]
	v_fma_f64 v[134:135], v[199:200], s[24:25], -v[116:117]
	v_mul_f64 v[86:87], v[176:177], s[38:39]
	v_add_f64 v[8:9], v[8:9], v[14:15]
	v_add_f64 v[30:31], v[98:99], v[30:31]
	v_mul_f64 v[98:99], v[100:101], s[40:41]
	v_mul_f64 v[100:101], v[176:177], s[40:41]
	v_add_f64 v[22:23], v[36:37], v[22:23]
	v_fma_f64 v[36:37], v[199:200], s[24:25], v[116:117]
	v_add_f64 v[38:39], v[112:113], v[38:39]
	v_add_f64 v[12:13], v[64:65], v[12:13]
	v_fma_f64 v[64:65], v[203:204], s[18:19], -v[94:95]
	v_add_f64 v[24:25], v[24:25], v[26:27]
	v_add_f64 v[32:33], v[32:33], v[34:35]
	v_fma_f64 v[34:35], v[203:204], s[8:9], -v[108:109]
	v_dual_mov_b32 v116, v150 :: v_dual_mov_b32 v117, v151
	v_fma_f64 v[112:113], v[203:204], s[8:9], v[108:109]
	v_mul_f64 v[108:109], v[201:202], s[28:29]
	v_fma_f64 v[26:27], v[199:200], s[8:9], v[106:107]
	v_fma_f64 v[92:93], v[190:191], s[2:3], -v[70:71]
	v_fma_f64 v[28:29], v[190:191], s[2:3], v[70:71]
	v_mul_f64 v[94:95], v[201:202], s[30:31]
	v_add_f64 v[80:81], v[96:97], v[80:81]
	v_add_f64 v[66:67], v[136:137], v[66:67]
	v_fma_f64 v[136:137], v[203:204], s[24:25], v[118:119]
	v_add_f64 v[40:41], v[40:41], v[44:45]
	v_fma_f64 v[44:45], v[203:204], s[24:25], -v[118:119]
	v_add_f64 v[20:21], v[68:69], v[20:21]
	v_fma_f64 v[68:69], v[195:196], s[8:9], -v[84:85]
	v_add_f64 v[16:17], v[74:75], v[16:17]
	v_add_f64 v[78:79], v[102:103], v[78:79]
	v_mul_f64 v[84:85], v[104:105], s[34:35]
	v_mul_f64 v[102:103], v[104:105], s[30:31]
	v_add_f64 v[72:73], v[138:139], v[72:73]
	v_add_f64 v[138:139], v[162:163], v[158:159]
	v_mul_f64 v[74:75], v[201:202], s[34:35]
	v_fma_f64 v[104:105], v[190:191], s[24:25], -v[98:99]
	v_fma_f64 v[106:107], v[195:196], s[24:25], v[100:101]
	v_add_f64 v[30:31], v[88:89], v[30:31]
	v_fma_f64 v[88:89], v[195:196], s[2:3], v[86:87]
	v_fma_f64 v[70:71], v[195:196], s[2:3], -v[86:87]
	v_fma_f64 v[118:119], v[195:196], s[16:17], v[132:133]
	v_add_f64 v[38:39], v[110:111], v[38:39]
	v_mul_f64 v[110:111], v[116:117], s[28:29]
	v_fma_f64 v[116:117], v[190:191], s[16:17], -v[114:115]
	v_add_f64 v[24:25], v[64:65], v[24:25]
	v_fma_f64 v[64:65], v[190:191], s[24:25], v[98:99]
	v_add_f64 v[22:23], v[34:35], v[22:23]
	v_fma_f64 v[34:35], v[190:191], s[16:17], v[114:115]
	v_add_f64 v[190:191], v[46:47], v[42:43]
	v_dual_mov_b32 v98, v168 :: v_dual_mov_b32 v99, v169
	v_fma_f64 v[124:125], v[184:185], s[8:9], -v[108:109]
	v_add_f64 v[26:27], v[26:27], v[32:33]
	v_fma_f64 v[32:33], v[195:196], s[24:25], -v[100:101]
	v_dual_mov_b32 v100, v174 :: v_dual_mov_b32 v101, v175
	v_dual_mov_b32 v114, v174 :: v_dual_mov_b32 v115, v175
	v_add_f64 v[12:13], v[90:91], v[12:13]
	v_mul_f64 v[96:97], v[98:99], s[26:27]
	v_add_f64 v[66:67], v[134:135], v[66:67]
	v_add_f64 v[134:135], v[193:194], v[0:1]
	v_add_f64 v[36:37], v[36:37], v[40:41]
	v_fma_f64 v[40:41], v[195:196], s[16:17], -v[132:133]
	v_add_f64 v[20:21], v[44:45], v[20:21]
	v_fma_f64 v[44:45], v[186:187], s[16:17], -v[82:83]
	v_add_f64 v[16:17], v[68:69], v[16:17]
	;; [unrolled: 2-line block ×3, first 2 shown]
	v_dual_mov_b32 v112, v168 :: v_dual_mov_b32 v113, v169
	v_add_f64 v[168:169], v[6:7], v[8:9]
	v_add_f64 v[72:73], v[136:137], v[72:73]
	v_fma_f64 v[136:137], v[182:183], s[16:17], v[245:246]
	v_mul_f64 v[82:83], v[98:99], s[28:29]
	v_mul_f64 v[86:87], v[100:101], s[28:29]
	;; [unrolled: 1-line block ×5, first 2 shown]
	v_fma_f64 v[90:91], v[184:185], s[10:11], -v[74:75]
	v_add_f64 v[30:31], v[92:93], v[30:31]
	v_fma_f64 v[92:93], v[186:187], s[10:11], v[84:85]
	v_fma_f64 v[100:101], v[184:185], s[20:21], -v[94:95]
	v_add_f64 v[38:39], v[104:105], v[38:39]
	v_fma_f64 v[104:105], v[186:187], s[20:21], v[102:103]
	v_add_f64 v[80:81], v[88:89], v[80:81]
	v_fma_f64 v[14:15], v[184:185], s[10:11], v[74:75]
	;; [unrolled: 2-line block ×3, first 2 shown]
	v_fma_f64 v[88:89], v[182:183], s[18:19], -v[76:77]
	v_add_f64 v[26:27], v[64:65], v[26:27]
	v_add_f64 v[22:23], v[32:33], v[22:23]
	v_fma_f64 v[32:33], v[184:185], s[8:9], v[108:109]
	v_fma_f64 v[64:65], v[186:187], s[20:21], -v[102:103]
	v_add_f64 v[132:133], v[243:244], v[172:173]
	v_add_f64 v[12:13], v[28:29], v[12:13]
	v_fma_f64 v[28:29], v[186:187], s[10:11], -v[84:85]
	v_add_f64 v[66:67], v[116:117], v[66:67]
	v_fma_f64 v[116:117], v[186:187], s[8:9], v[110:111]
	v_add_f64 v[34:35], v[34:35], v[36:37]
	v_fma_f64 v[36:37], v[186:187], s[8:9], -v[110:111]
	v_add_f64 v[20:21], v[40:41], v[20:21]
	v_add_f64 v[40:41], v[249:250], v[154:155]
	scratch_load_b64 v[250:251], off, off offset:424 ; 8-byte Folded Reload
	v_add_f64 v[42:43], v[68:69], v[4:5]
	scratch_load_b64 v[4:5], off, off offset:516 ; 8-byte Folded Reload
	v_fma_f64 v[84:85], v[180:181], s[18:19], v[120:121]
	v_add_f64 v[195:196], v[44:45], v[16:17]
	v_fma_f64 v[16:17], v[180:181], s[18:19], -v[120:121]
	v_fma_f64 v[46:47], v[180:181], s[2:3], -v[96:97]
	v_add_f64 v[140:141], v[136:137], v[140:141]
	v_fma_f64 v[44:45], v[180:181], s[8:9], -v[82:83]
	v_fma_f64 v[148:149], v[182:183], s[8:9], v[86:87]
	v_fma_f64 v[68:69], v[182:183], s[2:3], v[98:99]
	v_fma_f64 v[74:75], v[180:181], s[0:1], -v[112:113]
	v_fma_f64 v[76:77], v[182:183], s[0:1], v[114:115]
	v_fma_f64 v[205:206], v[180:181], s[8:9], v[82:83]
	v_fma_f64 v[209:210], v[182:183], s[8:9], -v[86:87]
	v_fma_f64 v[197:198], v[180:181], s[2:3], v[96:97]
	v_fma_f64 v[201:202], v[182:183], s[2:3], -v[98:99]
	;; [unrolled: 2-line block ×3, first 2 shown]
	v_add_f64 v[72:73], v[118:119], v[72:73]
	v_add_f64 v[78:79], v[106:107], v[78:79]
	;; [unrolled: 1-line block ×25, first 2 shown]
	s_waitcnt vmcnt(2)
	v_lshlrev_b32_e32 v249, 4, v213
	v_add_f64 v[178:179], v[180:181], v[184:185]
	v_add_f64 v[176:177], v[182:183], v[186:187]
	;; [unrolled: 1-line block ×4, first 2 shown]
	s_waitcnt vmcnt(0)
	v_add_f64 v[126:127], v[227:228], v[4:5]
	s_clause 0x1
	scratch_load_b64 v[4:5], off, off offset:500
	scratch_load_b64 v[6:7], off, off offset:524
	s_waitcnt vmcnt(0)
	v_add_f64 v[124:125], v[4:5], v[6:7]
	s_clause 0x1
	scratch_load_b64 v[4:5], off, off offset:508
	scratch_load_b64 v[6:7], off, off offset:532
	;; [unrolled: 5-line block ×3, first 2 shown]
	scratch_load_b128 v[0:3], off, off offset:444
	scratch_load_b64 v[8:9], off, off offset:492
	s_waitcnt vmcnt(2)
	v_add_f64 v[128:129], v[4:5], v[6:7]
	scratch_load_b64 v[4:5], off, off offset:556 ; 8-byte Folded Reload
	s_waitcnt vmcnt(2)
	v_add_f64 v[2:3], v[10:11], v[2:3]
	s_waitcnt vmcnt(1)
	v_add_f64 v[136:137], v[8:9], v[241:242]
	s_clause 0x1
	scratch_load_b64 v[8:9], off, off offset:460
	scratch_load_b64 v[10:11], off, off offset:468
	v_add_f64 v[0:1], v[18:19], v[0:1]
	v_add_f64 v[6:7], v[170:171], v[164:165]
	;; [unrolled: 1-line block ×4, first 2 shown]
	s_waitcnt vmcnt(2)
	v_add_f64 v[122:123], v[231:232], v[4:5]
	v_add_f64 v[4:5], v[166:167], v[160:161]
	;; [unrolled: 1-line block ×3, first 2 shown]
	s_waitcnt vmcnt(0)
	v_add_f64 v[162:163], v[8:9], v[10:11]
	s_clause 0x4
	scratch_load_b64 v[8:9], off, off offset:476
	scratch_load_b64 v[10:11], off, off offset:484
	scratch_load_b32 v181, off, off offset:436
	scratch_load_b32 v180, off, off offset:432
	;; [unrolled: 1-line block ×3, first 2 shown]
	s_waitcnt vmcnt(3)
	v_add_f64 v[160:161], v[8:9], v[10:11]
	scratch_load_b32 v9, off, off offset:8  ; 4-byte Folded Reload
	v_mul_lo_u16 v8, v213, 17
	s_delay_alu instid0(VALU_DEP_1) | instskip(SKIP_1) | instid1(VALU_DEP_1)
	v_and_b32_e32 v8, 0xffff, v8
	s_waitcnt vmcnt(0)
	v_lshl_add_u32 v8, v8, 4, v9
	ds_store_b128 v8, v[0:3]
	ds_store_b128 v8, v[156:159] offset:16
	ds_store_b128 v8, v[152:155] offset:32
	;; [unrolled: 1-line block ×16, first 2 shown]
.LBB0_13:
	s_or_b32 exec_lo, exec_lo, s33
	s_waitcnt lgkmcnt(0)
	s_waitcnt_vscnt null, 0x0
	s_barrier
	buffer_gl0_inv
	ds_load_b128 v[0:3], v255 offset:4080
	ds_load_b128 v[4:7], v255 offset:8160
	;; [unrolled: 1-line block ×11, first 2 shown]
	s_clause 0x5
	scratch_load_b128 v[86:89], off, off offset:108
	scratch_load_b128 v[94:97], off, off offset:156
	;; [unrolled: 1-line block ×6, first 2 shown]
	s_mov_b32 s0, 0xe8584caa
	s_mov_b32 s1, 0xbfebb67a
	;; [unrolled: 1-line block ×12, first 2 shown]
	s_waitcnt vmcnt(5) lgkmcnt(8)
	v_mul_f64 v[16:17], v[88:89], v[122:123]
	v_mul_f64 v[18:19], v[88:89], v[120:121]
	scratch_load_b128 v[88:91], off, off offset:124 ; 16-byte Folded Reload
	s_waitcnt vmcnt(4)
	v_mul_f64 v[12:13], v[72:73], v[6:7]
	v_mul_f64 v[14:15], v[72:73], v[4:5]
	scratch_load_b128 v[72:75], off, off offset:28 ; 16-byte Folded Reload
	s_waitcnt vmcnt(3) lgkmcnt(7)
	v_mul_f64 v[20:21], v[82:83], v[126:127]
	v_mul_f64 v[22:23], v[82:83], v[124:125]
	scratch_load_b128 v[82:85], off, off offset:76 ; 16-byte Folded Reload
	s_waitcnt vmcnt(3)
	v_mul_f64 v[8:9], v[68:69], v[2:3]
	v_mul_f64 v[10:11], v[68:69], v[0:1]
	s_waitcnt lgkmcnt(3)
	v_mul_f64 v[34:35], v[78:79], v[142:143]
	v_mul_f64 v[38:39], v[78:79], v[140:141]
	s_waitcnt lgkmcnt(2)
	v_mul_f64 v[40:41], v[96:97], v[146:147]
	v_mul_f64 v[44:45], v[96:97], v[144:145]
	v_fma_f64 v[16:17], v[86:87], v[120:121], v[16:17]
	v_fma_f64 v[18:19], v[86:87], v[122:123], -v[18:19]
	v_fma_f64 v[68:69], v[70:71], v[4:5], v[12:13]
	v_fma_f64 v[70:71], v[70:71], v[6:7], -v[14:15]
	ds_load_b128 v[4:7], v255 offset:816
	v_fma_f64 v[20:21], v[80:81], v[124:125], v[20:21]
	v_fma_f64 v[22:23], v[80:81], v[126:127], -v[22:23]
	v_fma_f64 v[64:65], v[66:67], v[0:1], v[8:9]
	v_fma_f64 v[66:67], v[66:67], v[2:3], -v[10:11]
	ds_load_b128 v[0:3], v255
	v_fma_f64 v[34:35], v[76:77], v[140:141], v[34:35]
	v_fma_f64 v[40:41], v[94:95], v[144:145], v[40:41]
	v_fma_f64 v[44:45], v[94:95], v[146:147], -v[44:45]
	v_fma_f64 v[38:39], v[76:77], v[142:143], -v[38:39]
	s_waitcnt lgkmcnt(1)
	v_add_f64 v[96:97], v[4:5], v[16:17]
	v_add_f64 v[98:99], v[6:7], v[18:19]
	;; [unrolled: 1-line block ×4, first 2 shown]
	v_add_f64 v[112:113], v[18:19], -v[22:23]
	v_add_f64 v[114:115], v[16:17], -v[20:21]
	;; [unrolled: 1-line block ×3, first 2 shown]
	v_add_f64 v[108:109], v[152:153], v[40:41]
	v_add_f64 v[110:111], v[154:155], v[44:45]
	v_fma_f64 v[76:77], v[76:77], -0.5, v[4:5]
	v_fma_f64 v[78:79], v[78:79], -0.5, v[6:7]
	v_add_f64 v[6:7], v[98:99], v[22:23]
	v_add_f64 v[4:5], v[96:97], v[20:21]
	s_waitcnt vmcnt(2)
	v_mul_f64 v[24:25], v[90:91], v[130:131]
	v_mul_f64 v[26:27], v[90:91], v[128:129]
	scratch_load_b128 v[90:93], off, off offset:140 ; 16-byte Folded Reload
	s_waitcnt vmcnt(2)
	v_mul_f64 v[32:33], v[74:75], v[138:139]
	v_mul_f64 v[36:37], v[74:75], v[136:137]
	v_add_f64 v[74:75], v[66:67], v[70:71]
	s_waitcnt vmcnt(1)
	v_mul_f64 v[30:31], v[84:85], v[132:133]
	v_mul_f64 v[28:29], v[84:85], v[134:135]
	ds_load_b128 v[8:11], v255 offset:1632
	ds_load_b128 v[12:15], v255 offset:2448
	s_waitcnt vmcnt(0) lgkmcnt(0)
	s_barrier
	buffer_gl0_inv
	v_add_f64 v[66:67], v[2:3], v[66:67]
	v_fma_f64 v[24:25], v[88:89], v[128:129], v[24:25]
	v_fma_f64 v[26:27], v[88:89], v[130:131], -v[26:27]
	v_fma_f64 v[32:33], v[72:73], v[136:137], v[32:33]
	v_fma_f64 v[36:37], v[72:73], v[138:139], -v[36:37]
	v_add_f64 v[72:73], v[64:65], v[68:69]
	v_fma_f64 v[30:31], v[82:83], v[134:135], -v[30:31]
	v_fma_f64 v[74:75], v[74:75], -0.5, v[2:3]
	v_fma_f64 v[28:29], v[82:83], v[132:133], v[28:29]
	v_add_f64 v[2:3], v[66:67], v[70:71]
	v_add_f64 v[100:101], v[8:9], v[24:25]
	;; [unrolled: 1-line block ×5, first 2 shown]
	v_fma_f64 v[72:73], v[72:73], -0.5, v[0:1]
	v_add_f64 v[82:83], v[26:27], v[30:31]
	v_add_f64 v[116:117], v[26:27], -v[30:31]
	v_add_f64 v[80:81], v[24:25], v[28:29]
	v_add_f64 v[118:119], v[24:25], -v[28:29]
	v_add_f64 v[122:123], v[32:33], -v[34:35]
	v_fma_f64 v[32:33], v[112:113], s[2:3], v[76:77]
	v_add_f64 v[86:87], v[36:37], v[38:39]
	v_add_f64 v[106:107], v[14:15], v[36:37]
	v_add_f64 v[120:121], v[36:37], -v[38:39]
	v_fma_f64 v[84:85], v[84:85], -0.5, v[12:13]
	v_add_f64 v[12:13], v[104:105], v[34:35]
	v_fma_f64 v[20:21], v[94:95], s[0:1], v[72:73]
	v_fma_f64 v[24:25], v[94:95], s[2:3], v[72:73]
	v_fma_f64 v[82:83], v[82:83], -0.5, v[10:11]
	v_fma_f64 v[80:81], v[80:81], -0.5, v[8:9]
	v_add_f64 v[8:9], v[100:101], v[28:29]
	v_add_f64 v[10:11], v[102:103], v[30:31]
	v_fma_f64 v[28:29], v[112:113], s[0:1], v[76:77]
	v_fma_f64 v[30:31], v[114:115], s[2:3], v[78:79]
	;; [unrolled: 1-line block ×3, first 2 shown]
	v_fma_f64 v[86:87], v[86:87], -0.5, v[14:15]
	v_add_f64 v[14:15], v[106:107], v[38:39]
	v_fma_f64 v[38:39], v[118:119], s[2:3], v[82:83]
	v_fma_f64 v[36:37], v[116:117], s[0:1], v[80:81]
	v_mul_f64 v[42:43], v[92:93], v[150:151]
	v_mul_f64 v[46:47], v[92:93], v[148:149]
	v_add_f64 v[92:93], v[0:1], v[64:65]
	v_add_f64 v[64:65], v[64:65], -v[68:69]
	s_delay_alu instid0(VALU_DEP_4) | instskip(NEXT) | instid1(VALU_DEP_4)
	v_fma_f64 v[42:43], v[90:91], v[148:149], v[42:43]
	v_fma_f64 v[46:47], v[90:91], v[150:151], -v[46:47]
	s_delay_alu instid0(VALU_DEP_4) | instskip(NEXT) | instid1(VALU_DEP_4)
	v_add_f64 v[0:1], v[92:93], v[68:69]
	v_fma_f64 v[22:23], v[64:65], s[2:3], v[74:75]
	v_fma_f64 v[26:27], v[64:65], s[0:1], v[74:75]
	scratch_load_b32 v64, off, off offset:412 ; 4-byte Folded Reload
	s_waitcnt vmcnt(0)
	ds_store_b128 v64, v[0:3]
	ds_store_b128 v64, v[20:23] offset:272
	ds_store_b128 v64, v[24:27] offset:544
	scratch_load_b32 v0, off, off offset:408 ; 4-byte Folded Reload
	v_add_f64 v[88:89], v[40:41], v[42:43]
	v_add_f64 v[130:131], v[40:41], -v[42:43]
	v_add_f64 v[16:17], v[108:109], v[42:43]
	v_fma_f64 v[40:41], v[116:117], s[2:3], v[80:81]
	v_fma_f64 v[42:43], v[118:119], s[0:1], v[82:83]
	v_add_f64 v[90:91], v[44:45], v[46:47]
	v_add_f64 v[126:127], v[44:45], -v[46:47]
	v_add_f64 v[18:19], v[110:111], v[46:47]
	v_fma_f64 v[44:45], v[120:121], s[0:1], v[84:85]
	v_fma_f64 v[46:47], v[122:123], s[2:3], v[86:87]
	;; [unrolled: 1-line block ×4, first 2 shown]
	s_waitcnt vmcnt(0)
	ds_store_b128 v0, v[4:7]
	ds_store_b128 v0, v[28:31] offset:272
	ds_store_b128 v0, v[32:35] offset:544
	scratch_load_b32 v0, off, off offset:404 ; 4-byte Folded Reload
	v_fma_f64 v[88:89], v[88:89], -0.5, v[152:153]
	v_fma_f64 v[90:91], v[90:91], -0.5, v[154:155]
	s_waitcnt vmcnt(0)
	ds_store_b128 v0, v[8:11]
	ds_store_b128 v0, v[36:39] offset:272
	ds_store_b128 v0, v[40:43] offset:544
	scratch_load_b32 v0, off, off offset:400 ; 4-byte Folded Reload
	v_fma_f64 v[124:125], v[126:127], s[0:1], v[88:89]
	v_fma_f64 v[128:129], v[126:127], s[2:3], v[88:89]
	;; [unrolled: 1-line block ×4, first 2 shown]
	s_waitcnt vmcnt(0)
	ds_store_b128 v0, v[12:15]
	ds_store_b128 v0, v[44:47] offset:272
	ds_store_b128 v0, v[120:123] offset:544
	scratch_load_b32 v0, off, off offset:332 ; 4-byte Folded Reload
	s_waitcnt vmcnt(0)
	ds_store_b128 v0, v[16:19]
	ds_store_b128 v0, v[124:127] offset:272
	ds_store_b128 v0, v[128:131] offset:544
	s_waitcnt lgkmcnt(0)
	s_barrier
	buffer_gl0_inv
	ds_load_b128 v[0:3], v255 offset:2448
	ds_load_b128 v[4:7], v255 offset:4896
	;; [unrolled: 1-line block ×13, first 2 shown]
	s_clause 0x3
	scratch_load_b128 v[116:119], off, off offset:220
	scratch_load_b128 v[112:115], off, off offset:204
	;; [unrolled: 1-line block ×4, first 2 shown]
	s_waitcnt lgkmcnt(12)
	v_mul_f64 v[64:65], v[62:63], v[2:3]
	s_waitcnt lgkmcnt(11)
	v_mul_f64 v[68:69], v[58:59], v[6:7]
	;; [unrolled: 2-line block ×3, first 2 shown]
	v_mul_f64 v[72:73], v[58:59], v[4:5]
	v_mul_f64 v[78:79], v[54:55], v[8:9]
	;; [unrolled: 1-line block ×3, first 2 shown]
	s_waitcnt lgkmcnt(9)
	v_mul_f64 v[74:75], v[50:51], v[14:15]
	v_mul_f64 v[76:77], v[50:51], v[12:13]
	s_waitcnt lgkmcnt(7)
	v_mul_f64 v[82:83], v[58:59], v[22:23]
	s_waitcnt lgkmcnt(6)
	v_mul_f64 v[84:85], v[54:55], v[26:27]
	v_mul_f64 v[58:59], v[58:59], v[20:21]
	;; [unrolled: 1-line block ×5, first 2 shown]
	s_waitcnt lgkmcnt(5)
	v_mul_f64 v[86:87], v[50:51], v[30:31]
	v_mul_f64 v[50:51], v[50:51], v[28:29]
	v_fma_f64 v[64:65], v[60:61], v[0:1], v[64:65]
	v_fma_f64 v[68:69], v[56:57], v[4:5], v[68:69]
	;; [unrolled: 1-line block ×3, first 2 shown]
	v_fma_f64 v[70:71], v[56:57], v[6:7], -v[72:73]
	v_fma_f64 v[10:11], v[52:53], v[10:11], -v[78:79]
	;; [unrolled: 1-line block ×3, first 2 shown]
	v_fma_f64 v[12:13], v[48:49], v[12:13], v[74:75]
	v_fma_f64 v[14:15], v[48:49], v[14:15], -v[76:77]
	v_fma_f64 v[20:21], v[56:57], v[20:21], v[82:83]
	v_fma_f64 v[24:25], v[52:53], v[24:25], v[84:85]
	v_fma_f64 v[22:23], v[56:57], v[22:23], -v[58:59]
	v_fma_f64 v[26:27], v[52:53], v[26:27], -v[54:55]
	v_fma_f64 v[16:17], v[60:61], v[16:17], v[80:81]
	v_fma_f64 v[18:19], v[60:61], v[18:19], -v[62:63]
	v_fma_f64 v[28:29], v[48:49], v[28:29], v[86:87]
	v_fma_f64 v[30:31], v[48:49], v[30:31], -v[50:51]
	ds_load_b128 v[0:3], v255
	ds_load_b128 v[4:7], v255 offset:816
	s_waitcnt vmcnt(0) lgkmcnt(0)
	s_barrier
	buffer_gl0_inv
	v_add_f64 v[54:55], v[0:1], v[64:65]
	v_add_f64 v[74:75], v[64:65], -v[68:69]
	v_add_f64 v[52:53], v[68:69], v[8:9]
	v_add_f64 v[82:83], v[68:69], -v[64:65]
	;; [unrolled: 2-line block ×3, first 2 shown]
	v_add_f64 v[56:57], v[64:65], v[12:13]
	v_add_f64 v[72:73], v[66:67], v[14:15]
	v_add_f64 v[58:59], v[66:67], -v[14:15]
	v_add_f64 v[76:77], v[20:21], v[24:25]
	v_add_f64 v[78:79], v[12:13], -v[8:9]
	v_add_f64 v[84:85], v[22:23], v[26:27]
	v_add_f64 v[86:87], v[8:9], -v[12:13]
	v_add_f64 v[64:65], v[64:65], -v[12:13]
	v_add_f64 v[80:81], v[16:17], v[28:29]
	v_add_f64 v[124:125], v[20:21], -v[24:25]
	v_add_f64 v[130:131], v[18:19], -v[22:23]
	v_add_f64 v[54:55], v[54:55], v[68:69]
	v_fma_f64 v[52:53], v[52:53], -0.5, v[0:1]
	v_fma_f64 v[60:61], v[60:61], -0.5, v[2:3]
	;; [unrolled: 1-line block ×3, first 2 shown]
	v_add_f64 v[56:57], v[30:31], -v[26:27]
	v_fma_f64 v[76:77], v[76:77], -0.5, v[4:5]
	v_fma_f64 v[84:85], v[84:85], -0.5, v[6:7]
	s_delay_alu instid0(VALU_DEP_3)
	v_add_f64 v[56:57], v[130:131], v[56:57]
	v_mul_f64 v[88:89], v[118:119], v[38:39]
	v_mul_f64 v[90:91], v[118:119], v[36:37]
	;; [unrolled: 1-line block ×8, first 2 shown]
	v_add_f64 v[110:111], v[18:19], -v[30:31]
	v_add_f64 v[114:115], v[16:17], -v[20:21]
	;; [unrolled: 1-line block ×4, first 2 shown]
	v_fma_f64 v[36:37], v[116:117], v[36:37], v[88:89]
	v_fma_f64 v[38:39], v[116:117], v[38:39], -v[90:91]
	v_fma_f64 v[40:41], v[112:113], v[40:41], v[92:93]
	v_fma_f64 v[44:45], v[108:109], v[44:45], v[94:95]
	v_fma_f64 v[42:43], v[112:113], v[42:43], -v[96:97]
	v_fma_f64 v[48:49], v[104:105], v[120:121], v[98:99]
	v_fma_f64 v[46:47], v[108:109], v[46:47], -v[100:101]
	v_fma_f64 v[50:51], v[104:105], v[122:123], -v[102:103]
	v_add_f64 v[88:89], v[18:19], v[30:31]
	v_add_f64 v[90:91], v[2:3], v[66:67]
	;; [unrolled: 1-line block ×4, first 2 shown]
	v_add_f64 v[96:97], v[68:69], -v[8:9]
	v_add_f64 v[102:103], v[66:67], -v[70:71]
	;; [unrolled: 1-line block ×3, first 2 shown]
	v_fma_f64 v[2:3], v[72:73], -0.5, v[2:3]
	v_add_f64 v[16:17], v[16:17], -v[28:29]
	v_add_f64 v[66:67], v[70:71], -v[66:67]
	;; [unrolled: 1-line block ×3, first 2 shown]
	v_fma_f64 v[4:5], v[80:81], -0.5, v[4:5]
	v_add_f64 v[18:19], v[22:23], -v[18:19]
	v_add_f64 v[72:73], v[26:27], -v[30:31]
	v_add_f64 v[68:69], v[74:75], v[78:79]
	v_add_f64 v[74:75], v[82:83], v[86:87]
	v_fma_f64 v[82:83], v[58:59], s[16:17], v[52:53]
	v_add_f64 v[116:117], v[28:29], -v[24:25]
	v_add_f64 v[120:121], v[24:25], -v[28:29]
	v_fma_f64 v[86:87], v[62:63], s[18:19], v[0:1]
	v_fma_f64 v[52:53], v[58:59], s[18:19], v[52:53]
	;; [unrolled: 1-line block ×3, first 2 shown]
	v_add_f64 v[8:9], v[54:55], v[8:9]
	v_add_f64 v[126:127], v[32:33], v[36:37]
	;; [unrolled: 1-line block ×3, first 2 shown]
	v_add_f64 v[134:135], v[36:37], -v[40:41]
	v_add_f64 v[92:93], v[40:41], v[44:45]
	v_add_f64 v[138:139], v[38:39], -v[42:43]
	v_add_f64 v[94:95], v[36:37], v[48:49]
	v_add_f64 v[98:99], v[42:43], v[46:47]
	;; [unrolled: 1-line block ×3, first 2 shown]
	v_fma_f64 v[6:7], v[88:89], -0.5, v[6:7]
	v_add_f64 v[132:133], v[38:39], -v[50:51]
	v_add_f64 v[80:81], v[42:43], -v[46:47]
	;; [unrolled: 1-line block ×3, first 2 shown]
	v_add_f64 v[70:71], v[90:91], v[70:71]
	v_add_f64 v[38:39], v[42:43], -v[38:39]
	v_add_f64 v[20:21], v[108:109], v[20:21]
	v_add_f64 v[22:23], v[122:123], v[22:23]
	v_fma_f64 v[90:91], v[64:65], s[18:19], v[60:61]
	v_add_f64 v[36:37], v[40:41], -v[36:37]
	v_add_f64 v[142:143], v[46:47], -v[50:51]
	v_add_f64 v[78:79], v[102:103], v[104:105]
	v_fma_f64 v[102:103], v[96:97], s[16:17], v[2:3]
	v_fma_f64 v[2:3], v[96:97], s[18:19], v[2:3]
	;; [unrolled: 1-line block ×5, first 2 shown]
	v_add_f64 v[66:67], v[66:67], v[106:107]
	v_fma_f64 v[76:77], v[110:111], s[18:19], v[76:77]
	v_fma_f64 v[106:107], v[112:113], s[18:19], v[4:5]
	;; [unrolled: 1-line block ×4, first 2 shown]
	v_add_f64 v[72:73], v[18:19], v[72:73]
	v_add_f64 v[140:141], v[50:51], -v[46:47]
	v_add_f64 v[114:115], v[114:115], v[116:117]
	v_add_f64 v[116:117], v[118:119], v[120:121]
	v_add_f64 v[88:89], v[48:49], -v[44:45]
	v_add_f64 v[42:43], v[128:129], v[42:43]
	v_fma_f64 v[92:93], v[92:93], -0.5, v[32:33]
	v_fma_f64 v[32:33], v[94:95], -0.5, v[32:33]
	v_add_f64 v[94:95], v[40:41], -v[44:45]
	v_fma_f64 v[98:99], v[98:99], -0.5, v[34:35]
	v_fma_f64 v[34:35], v[100:101], -0.5, v[34:35]
	v_add_f64 v[40:41], v[126:127], v[40:41]
	v_add_f64 v[100:101], v[44:45], -v[48:49]
	v_fma_f64 v[122:123], v[124:125], s[16:17], v[6:7]
	v_fma_f64 v[6:7], v[124:125], s[18:19], v[6:7]
	v_add_f64 v[10:11], v[70:71], v[10:11]
	v_add_f64 v[18:19], v[20:21], v[24:25]
	;; [unrolled: 1-line block ×3, first 2 shown]
	v_fma_f64 v[26:27], v[62:63], s[8:9], v[82:83]
	v_add_f64 v[120:121], v[38:39], v[142:143]
	v_fma_f64 v[38:39], v[58:59], s[8:9], v[86:87]
	v_fma_f64 v[54:55], v[112:113], s[8:9], v[104:105]
	;; [unrolled: 1-line block ×3, first 2 shown]
	v_add_f64 v[118:119], v[138:139], v[140:141]
	v_add_f64 v[88:89], v[134:135], v[88:89]
	;; [unrolled: 1-line block ×3, first 2 shown]
	v_fma_f64 v[42:43], v[96:97], s[10:11], v[90:91]
	v_fma_f64 v[126:127], v[132:133], s[16:17], v[92:93]
	;; [unrolled: 1-line block ×9, first 2 shown]
	v_add_f64 v[22:23], v[40:41], v[44:45]
	v_add_f64 v[100:101], v[36:37], v[100:101]
	v_fma_f64 v[36:37], v[62:63], s[10:11], v[52:53]
	v_fma_f64 v[40:41], v[58:59], s[10:11], v[0:1]
	v_fma_f64 v[52:53], v[64:65], s[8:9], v[2:3]
	v_fma_f64 v[44:45], v[96:97], s[8:9], v[60:61]
	v_fma_f64 v[64:65], v[124:125], s[10:11], v[108:109]
	v_fma_f64 v[58:59], v[112:113], s[10:11], v[76:77]
	v_fma_f64 v[60:61], v[110:111], s[8:9], v[106:107]
	v_fma_f64 v[76:77], v[16:17], s[10:11], v[122:123]
	v_fma_f64 v[62:63], v[110:111], s[10:11], v[4:5]
	v_fma_f64 v[82:83], v[16:17], s[8:9], v[6:7]
	v_fma_f64 v[32:33], v[80:81], s[16:17], v[32:33]
	v_add_f64 v[0:1], v[8:9], v[12:13]
	v_add_f64 v[2:3], v[10:11], v[14:15]
	;; [unrolled: 1-line block ×5, first 2 shown]
	v_fma_f64 v[84:85], v[80:81], s[8:9], v[126:127]
	v_fma_f64 v[80:81], v[80:81], s[10:11], v[92:93]
	;; [unrolled: 1-line block ×7, first 2 shown]
	s_mov_b32 s8, 0x372fe950
	s_mov_b32 s9, 0x3fd3c6ef
	v_add_f64 v[8:9], v[22:23], v[48:49]
	v_fma_f64 v[12:13], v[68:69], s[8:9], v[26:27]
	v_fma_f64 v[14:15], v[78:79], s[8:9], v[42:43]
	;; [unrolled: 1-line block ×17, first 2 shown]
	ds_store_b128 v255, v[0:3]
	ds_store_b128 v255, v[12:15] offset:816
	ds_store_b128 v255, v[20:23] offset:1632
	;; [unrolled: 1-line block ×9, first 2 shown]
	scratch_load_b32 v0, off, off offset:416 ; 4-byte Folded Reload
	v_fma_f64 v[44:45], v[88:89], s[8:9], v[84:85]
	v_fma_f64 v[46:47], v[118:119], s[8:9], v[92:93]
	;; [unrolled: 1-line block ×8, first 2 shown]
	s_waitcnt vmcnt(0)
	ds_store_b128 v0, v[8:11] offset:8160
	ds_store_b128 v0, v[44:47] offset:8976
	;; [unrolled: 1-line block ×5, first 2 shown]
	s_waitcnt lgkmcnt(0)
	s_barrier
	buffer_gl0_inv
	ds_load_b128 v[0:3], v255 offset:4080
	ds_load_b128 v[4:7], v255 offset:8160
	;; [unrolled: 1-line block ×11, first 2 shown]
	s_clause 0x5
	scratch_load_b128 v[88:91], off, off offset:252
	scratch_load_b128 v[84:87], off, off offset:236
	;; [unrolled: 1-line block ×6, first 2 shown]
	s_waitcnt vmcnt(5) lgkmcnt(10)
	v_mul_f64 v[44:45], v[90:91], v[2:3]
	v_mul_f64 v[46:47], v[90:91], v[0:1]
	scratch_load_b128 v[90:93], off, off offset:268 ; 16-byte Folded Reload
	s_waitcnt vmcnt(4) lgkmcnt(8)
	v_mul_f64 v[52:53], v[96:97], v[10:11]
	v_mul_f64 v[54:55], v[96:97], v[8:9]
	scratch_load_b128 v[96:99], off, off offset:300 ; 16-byte Folded Reload
	;; [unrolled: 4-line block ×4, first 2 shown]
	v_mul_f64 v[48:49], v[86:87], v[6:7]
	v_mul_f64 v[50:51], v[86:87], v[4:5]
	s_waitcnt vmcnt(4) lgkmcnt(2)
	v_mul_f64 v[76:77], v[114:115], v[34:35]
	v_mul_f64 v[80:81], v[114:115], v[32:33]
	v_fma_f64 v[44:45], v[88:89], v[0:1], v[44:45]
	v_fma_f64 v[46:47], v[88:89], v[2:3], -v[46:47]
	ds_load_b128 v[0:3], v255
	v_fma_f64 v[52:53], v[94:95], v[8:9], v[52:53]
	v_fma_f64 v[54:55], v[94:95], v[10:11], -v[54:55]
	v_fma_f64 v[16:17], v[100:101], v[16:17], v[60:61]
	v_fma_f64 v[18:19], v[100:101], v[18:19], -v[62:63]
	;; [unrolled: 2-line block ×4, first 2 shown]
	ds_load_b128 v[4:7], v255 offset:816
	v_fma_f64 v[32:33], v[112:113], v[32:33], v[76:77]
	v_fma_f64 v[34:35], v[112:113], v[34:35], -v[80:81]
	s_waitcnt lgkmcnt(1)
	v_add_f64 v[80:81], v[0:1], v[44:45]
	s_waitcnt lgkmcnt(0)
	v_add_f64 v[84:85], v[4:5], v[52:53]
	v_add_f64 v[86:87], v[6:7], v[54:55]
	;; [unrolled: 1-line block ×4, first 2 shown]
	v_add_f64 v[44:45], v[44:45], -v[48:49]
	s_delay_alu instid0(VALU_DEP_3) | instskip(NEXT) | instid1(VALU_DEP_3)
	v_fma_f64 v[60:61], v[60:61], -0.5, v[0:1]
	v_fma_f64 v[62:63], v[62:63], -0.5, v[2:3]
	v_add_f64 v[0:1], v[80:81], v[48:49]
	s_waitcnt vmcnt(3)
	v_mul_f64 v[56:57], v[92:93], v[14:15]
	v_mul_f64 v[58:59], v[92:93], v[12:13]
	s_waitcnt vmcnt(2)
	v_mul_f64 v[64:65], v[98:99], v[22:23]
	v_mul_f64 v[66:67], v[98:99], v[20:21]
	v_add_f64 v[98:99], v[42:43], v[34:35]
	s_waitcnt vmcnt(1)
	v_mul_f64 v[70:71], v[104:105], v[30:31]
	v_mul_f64 v[74:75], v[104:105], v[28:29]
	s_waitcnt vmcnt(0)
	v_mul_f64 v[78:79], v[110:111], v[38:39]
	v_mul_f64 v[82:83], v[110:111], v[36:37]
	v_fma_f64 v[56:57], v[90:91], v[12:13], v[56:57]
	v_fma_f64 v[58:59], v[90:91], v[14:15], -v[58:59]
	ds_load_b128 v[8:11], v255 offset:1632
	ds_load_b128 v[12:15], v255 offset:2448
	v_fma_f64 v[20:21], v[96:97], v[20:21], v[64:65]
	v_fma_f64 v[22:23], v[96:97], v[22:23], -v[66:67]
	v_add_f64 v[96:97], v[40:41], v[32:33]
	v_fma_f64 v[28:29], v[102:103], v[28:29], v[70:71]
	v_fma_f64 v[30:31], v[102:103], v[30:31], -v[74:75]
	v_fma_f64 v[36:37], v[108:109], v[36:37], v[78:79]
	v_fma_f64 v[38:39], v[108:109], v[38:39], -v[82:83]
	v_add_f64 v[82:83], v[46:47], -v[50:51]
	v_add_f64 v[46:47], v[2:3], v[46:47]
	s_waitcnt lgkmcnt(1)
	v_add_f64 v[88:89], v[8:9], v[16:17]
	s_waitcnt lgkmcnt(0)
	v_add_f64 v[92:93], v[12:13], v[24:25]
	v_add_f64 v[94:95], v[14:15], v[26:27]
	;; [unrolled: 1-line block ×5, first 2 shown]
	v_add_f64 v[54:55], v[54:55], -v[58:59]
	v_add_f64 v[68:69], v[16:17], v[20:21]
	v_add_f64 v[70:71], v[18:19], v[22:23]
	v_add_f64 v[52:53], v[52:53], -v[56:57]
	v_add_f64 v[72:73], v[24:25], v[28:29]
	v_add_f64 v[74:75], v[26:27], v[30:31]
	;; [unrolled: 3-line block ×3, first 2 shown]
	v_add_f64 v[102:103], v[16:17], -v[20:21]
	v_add_f64 v[104:105], v[26:27], -v[30:31]
	;; [unrolled: 1-line block ×5, first 2 shown]
	v_add_f64 v[2:3], v[46:47], v[50:51]
	v_fma_f64 v[24:25], v[82:83], s[2:3], v[60:61]
	v_fma_f64 v[26:27], v[44:45], s[0:1], v[62:63]
	v_add_f64 v[16:17], v[96:97], v[36:37]
	v_add_f64 v[18:19], v[98:99], v[38:39]
	v_fma_f64 v[64:65], v[64:65], -0.5, v[4:5]
	v_fma_f64 v[66:67], v[66:67], -0.5, v[6:7]
	v_add_f64 v[4:5], v[84:85], v[56:57]
	v_fma_f64 v[68:69], v[68:69], -0.5, v[8:9]
	v_fma_f64 v[70:71], v[70:71], -0.5, v[10:11]
	;; [unrolled: 3-line block ×4, first 2 shown]
	v_add_f64 v[14:15], v[94:95], v[30:31]
	v_add_f64 v[8:9], v[88:89], v[20:21]
	;; [unrolled: 1-line block ×3, first 2 shown]
	v_fma_f64 v[20:21], v[82:83], s[0:1], v[60:61]
	v_fma_f64 v[22:23], v[44:45], s[2:3], v[62:63]
	;; [unrolled: 1-line block ×18, first 2 shown]
	ds_store_b128 v192, v[0:3]
	ds_store_b128 v192, v[4:7] offset:816
	ds_store_b128 v192, v[24:27] offset:8160
	;; [unrolled: 1-line block ×14, first 2 shown]
	s_waitcnt lgkmcnt(0)
	s_barrier
	buffer_gl0_inv
	s_and_b32 exec_lo, exec_lo, vcc_lo
	s_cbranch_execz .LBB0_15
; %bb.14:
	global_load_b128 v[1:4], v249, s[12:13]
	ds_load_b128 v[5:8], v192
	s_clause 0x2
	scratch_load_b32 v0, off, off offset:4
	scratch_load_b32 v9, off, off offset:420
	scratch_load_b32 v17, off, off
	s_mov_b32 s0, 0x156ac015
	s_mov_b32 s1, 0x3f556ac0
	s_mul_i32 s2, s5, 0x2d0
	s_mul_i32 s3, s4, 0x2d0
	s_waitcnt vmcnt(3) lgkmcnt(0)
	v_mul_f64 v[13:14], v[7:8], v[3:4]
	v_mul_f64 v[3:4], v[5:6], v[3:4]
	s_waitcnt vmcnt(1)
	v_lshl_add_u32 v0, v0, 4, v9
	ds_load_b128 v[9:12], v0 offset:720
	v_fma_f64 v[5:6], v[5:6], v[1:2], v[13:14]
	v_fma_f64 v[3:4], v[1:2], v[7:8], -v[3:4]
	v_mad_u64_u32 v[7:8], null, s6, v250, 0
	s_waitcnt vmcnt(0)
	v_mad_u64_u32 v[13:14], null, s4, v17, 0
	s_delay_alu instid0(VALU_DEP_4) | instskip(NEXT) | instid1(VALU_DEP_4)
	v_mul_f64 v[1:2], v[5:6], s[0:1]
	v_mul_f64 v[3:4], v[3:4], s[0:1]
	s_delay_alu instid0(VALU_DEP_3) | instskip(NEXT) | instid1(VALU_DEP_1)
	v_dual_mov_b32 v5, v8 :: v_dual_mov_b32 v6, v14
	v_mad_u64_u32 v[14:15], null, s7, v250, v[5:6]
	v_mad_u64_u32 v[15:16], null, s5, v17, v[6:7]
	s_mul_hi_u32 s5, s4, 0x2d0
	v_add_co_u32 v19, s4, s12, v249
	s_add_i32 s2, s5, s2
	s_delay_alu instid0(VALU_DEP_3) | instskip(SKIP_1) | instid1(VALU_DEP_4)
	v_mov_b32_e32 v8, v14
	v_add_co_ci_u32_e64 v20, null, s13, 0, s4
	v_mov_b32_e32 v14, v15
	s_delay_alu instid0(VALU_DEP_3) | instskip(NEXT) | instid1(VALU_DEP_2)
	v_lshlrev_b64 v[5:6], 4, v[7:8]
	v_lshlrev_b64 v[7:8], 4, v[13:14]
	s_delay_alu instid0(VALU_DEP_2) | instskip(NEXT) | instid1(VALU_DEP_3)
	v_add_co_u32 v5, vcc_lo, s14, v5
	v_add_co_ci_u32_e32 v6, vcc_lo, s15, v6, vcc_lo
	s_delay_alu instid0(VALU_DEP_2) | instskip(NEXT) | instid1(VALU_DEP_2)
	v_add_co_u32 v5, vcc_lo, v5, v7
	v_add_co_ci_u32_e32 v6, vcc_lo, v6, v8, vcc_lo
	s_delay_alu instid0(VALU_DEP_2)
	v_add_co_u32 v13, vcc_lo, v5, s3
	global_store_b128 v[5:6], v[1:4], off
	global_load_b128 v[1:4], v249, s[12:13] offset:720
	v_add_co_ci_u32_e32 v14, vcc_lo, s2, v6, vcc_lo
	s_waitcnt vmcnt(0) lgkmcnt(0)
	v_mul_f64 v[7:8], v[11:12], v[3:4]
	v_mul_f64 v[3:4], v[9:10], v[3:4]
	s_delay_alu instid0(VALU_DEP_2) | instskip(NEXT) | instid1(VALU_DEP_2)
	v_fma_f64 v[7:8], v[9:10], v[1:2], v[7:8]
	v_fma_f64 v[3:4], v[1:2], v[11:12], -v[3:4]
	s_delay_alu instid0(VALU_DEP_2) | instskip(NEXT) | instid1(VALU_DEP_2)
	v_mul_f64 v[1:2], v[7:8], s[0:1]
	v_mul_f64 v[3:4], v[3:4], s[0:1]
	global_store_b128 v[13:14], v[1:4], off
	global_load_b128 v[1:4], v249, s[12:13] offset:1440
	ds_load_b128 v[5:8], v0 offset:1440
	ds_load_b128 v[9:12], v0 offset:2160
	s_waitcnt vmcnt(0) lgkmcnt(1)
	v_mul_f64 v[15:16], v[7:8], v[3:4]
	v_mul_f64 v[3:4], v[5:6], v[3:4]
	s_delay_alu instid0(VALU_DEP_2) | instskip(NEXT) | instid1(VALU_DEP_2)
	v_fma_f64 v[5:6], v[5:6], v[1:2], v[15:16]
	v_fma_f64 v[3:4], v[1:2], v[7:8], -v[3:4]
	s_delay_alu instid0(VALU_DEP_2) | instskip(NEXT) | instid1(VALU_DEP_2)
	v_mul_f64 v[1:2], v[5:6], s[0:1]
	v_mul_f64 v[3:4], v[3:4], s[0:1]
	v_add_co_u32 v5, vcc_lo, v13, s3
	v_add_co_ci_u32_e32 v6, vcc_lo, s2, v14, vcc_lo
	s_delay_alu instid0(VALU_DEP_2) | instskip(NEXT) | instid1(VALU_DEP_2)
	v_add_co_u32 v13, vcc_lo, v5, s3
	v_add_co_ci_u32_e32 v14, vcc_lo, s2, v6, vcc_lo
	global_store_b128 v[5:6], v[1:4], off
	global_load_b128 v[1:4], v249, s[12:13] offset:2160
	s_waitcnt vmcnt(0) lgkmcnt(0)
	v_mul_f64 v[7:8], v[11:12], v[3:4]
	v_mul_f64 v[3:4], v[9:10], v[3:4]
	s_delay_alu instid0(VALU_DEP_2) | instskip(NEXT) | instid1(VALU_DEP_2)
	v_fma_f64 v[7:8], v[9:10], v[1:2], v[7:8]
	v_fma_f64 v[3:4], v[1:2], v[11:12], -v[3:4]
	s_delay_alu instid0(VALU_DEP_2) | instskip(NEXT) | instid1(VALU_DEP_2)
	v_mul_f64 v[1:2], v[7:8], s[0:1]
	v_mul_f64 v[3:4], v[3:4], s[0:1]
	global_store_b128 v[13:14], v[1:4], off
	global_load_b128 v[1:4], v249, s[12:13] offset:2880
	ds_load_b128 v[5:8], v0 offset:2880
	ds_load_b128 v[9:12], v0 offset:3600
	s_waitcnt vmcnt(0) lgkmcnt(1)
	v_mul_f64 v[15:16], v[7:8], v[3:4]
	v_mul_f64 v[3:4], v[5:6], v[3:4]
	s_delay_alu instid0(VALU_DEP_2) | instskip(NEXT) | instid1(VALU_DEP_2)
	v_fma_f64 v[5:6], v[5:6], v[1:2], v[15:16]
	v_fma_f64 v[3:4], v[1:2], v[7:8], -v[3:4]
	s_delay_alu instid0(VALU_DEP_2) | instskip(NEXT) | instid1(VALU_DEP_2)
	v_mul_f64 v[1:2], v[5:6], s[0:1]
	v_mul_f64 v[3:4], v[3:4], s[0:1]
	v_add_co_u32 v5, vcc_lo, v13, s3
	v_add_co_ci_u32_e32 v6, vcc_lo, s2, v14, vcc_lo
	s_delay_alu instid0(VALU_DEP_2) | instskip(NEXT) | instid1(VALU_DEP_2)
	v_add_co_u32 v13, vcc_lo, v5, s3
	v_add_co_ci_u32_e32 v14, vcc_lo, s2, v6, vcc_lo
	v_add_co_u32 v15, vcc_lo, 0x1000, v19
	v_add_co_ci_u32_e32 v16, vcc_lo, 0, v20, vcc_lo
	global_store_b128 v[5:6], v[1:4], off
	global_load_b128 v[1:4], v249, s[12:13] offset:3600
	s_waitcnt vmcnt(0) lgkmcnt(0)
	v_mul_f64 v[7:8], v[11:12], v[3:4]
	v_mul_f64 v[3:4], v[9:10], v[3:4]
	s_delay_alu instid0(VALU_DEP_2) | instskip(NEXT) | instid1(VALU_DEP_2)
	v_fma_f64 v[7:8], v[9:10], v[1:2], v[7:8]
	v_fma_f64 v[3:4], v[1:2], v[11:12], -v[3:4]
	s_delay_alu instid0(VALU_DEP_2) | instskip(NEXT) | instid1(VALU_DEP_2)
	v_mul_f64 v[1:2], v[7:8], s[0:1]
	v_mul_f64 v[3:4], v[3:4], s[0:1]
	global_store_b128 v[13:14], v[1:4], off
	global_load_b128 v[1:4], v[15:16], off offset:224
	ds_load_b128 v[5:8], v0 offset:4320
	ds_load_b128 v[9:12], v0 offset:5040
	s_waitcnt vmcnt(0) lgkmcnt(1)
	v_mul_f64 v[17:18], v[7:8], v[3:4]
	v_mul_f64 v[3:4], v[5:6], v[3:4]
	s_delay_alu instid0(VALU_DEP_2) | instskip(NEXT) | instid1(VALU_DEP_2)
	v_fma_f64 v[5:6], v[5:6], v[1:2], v[17:18]
	v_fma_f64 v[3:4], v[1:2], v[7:8], -v[3:4]
	s_delay_alu instid0(VALU_DEP_2) | instskip(NEXT) | instid1(VALU_DEP_2)
	v_mul_f64 v[1:2], v[5:6], s[0:1]
	v_mul_f64 v[3:4], v[3:4], s[0:1]
	v_add_co_u32 v5, vcc_lo, v13, s3
	v_add_co_ci_u32_e32 v6, vcc_lo, s2, v14, vcc_lo
	s_delay_alu instid0(VALU_DEP_2) | instskip(NEXT) | instid1(VALU_DEP_2)
	v_add_co_u32 v13, vcc_lo, v5, s3
	v_add_co_ci_u32_e32 v14, vcc_lo, s2, v6, vcc_lo
	global_store_b128 v[5:6], v[1:4], off
	global_load_b128 v[1:4], v[15:16], off offset:944
	s_waitcnt vmcnt(0) lgkmcnt(0)
	v_mul_f64 v[7:8], v[11:12], v[3:4]
	v_mul_f64 v[3:4], v[9:10], v[3:4]
	s_delay_alu instid0(VALU_DEP_2) | instskip(NEXT) | instid1(VALU_DEP_2)
	v_fma_f64 v[7:8], v[9:10], v[1:2], v[7:8]
	v_fma_f64 v[3:4], v[1:2], v[11:12], -v[3:4]
	s_delay_alu instid0(VALU_DEP_2) | instskip(NEXT) | instid1(VALU_DEP_2)
	v_mul_f64 v[1:2], v[7:8], s[0:1]
	v_mul_f64 v[3:4], v[3:4], s[0:1]
	global_store_b128 v[13:14], v[1:4], off
	global_load_b128 v[1:4], v[15:16], off offset:1664
	ds_load_b128 v[5:8], v0 offset:5760
	ds_load_b128 v[9:12], v0 offset:6480
	s_waitcnt vmcnt(0) lgkmcnt(1)
	v_mul_f64 v[17:18], v[7:8], v[3:4]
	v_mul_f64 v[3:4], v[5:6], v[3:4]
	s_delay_alu instid0(VALU_DEP_2) | instskip(NEXT) | instid1(VALU_DEP_2)
	v_fma_f64 v[5:6], v[5:6], v[1:2], v[17:18]
	v_fma_f64 v[3:4], v[1:2], v[7:8], -v[3:4]
	s_delay_alu instid0(VALU_DEP_2) | instskip(NEXT) | instid1(VALU_DEP_2)
	v_mul_f64 v[1:2], v[5:6], s[0:1]
	v_mul_f64 v[3:4], v[3:4], s[0:1]
	v_add_co_u32 v5, vcc_lo, v13, s3
	v_add_co_ci_u32_e32 v6, vcc_lo, s2, v14, vcc_lo
	s_delay_alu instid0(VALU_DEP_2) | instskip(NEXT) | instid1(VALU_DEP_2)
	v_add_co_u32 v13, vcc_lo, v5, s3
	v_add_co_ci_u32_e32 v14, vcc_lo, s2, v6, vcc_lo
	global_store_b128 v[5:6], v[1:4], off
	global_load_b128 v[1:4], v[15:16], off offset:2384
	;; [unrolled: 29-line block ×3, first 2 shown]
	v_add_co_u32 v15, vcc_lo, 0x2000, v19
	v_add_co_ci_u32_e32 v16, vcc_lo, 0, v20, vcc_lo
	s_waitcnt vmcnt(0) lgkmcnt(0)
	v_mul_f64 v[7:8], v[11:12], v[3:4]
	v_mul_f64 v[3:4], v[9:10], v[3:4]
	s_delay_alu instid0(VALU_DEP_2) | instskip(NEXT) | instid1(VALU_DEP_2)
	v_fma_f64 v[7:8], v[9:10], v[1:2], v[7:8]
	v_fma_f64 v[3:4], v[1:2], v[11:12], -v[3:4]
	s_delay_alu instid0(VALU_DEP_2) | instskip(NEXT) | instid1(VALU_DEP_2)
	v_mul_f64 v[1:2], v[7:8], s[0:1]
	v_mul_f64 v[3:4], v[3:4], s[0:1]
	global_store_b128 v[13:14], v[1:4], off
	global_load_b128 v[1:4], v[15:16], off offset:448
	ds_load_b128 v[5:8], v0 offset:8640
	ds_load_b128 v[9:12], v0 offset:9360
	s_waitcnt vmcnt(0) lgkmcnt(1)
	v_mul_f64 v[17:18], v[7:8], v[3:4]
	v_mul_f64 v[3:4], v[5:6], v[3:4]
	s_delay_alu instid0(VALU_DEP_2) | instskip(NEXT) | instid1(VALU_DEP_2)
	v_fma_f64 v[5:6], v[5:6], v[1:2], v[17:18]
	v_fma_f64 v[3:4], v[1:2], v[7:8], -v[3:4]
	s_delay_alu instid0(VALU_DEP_2) | instskip(NEXT) | instid1(VALU_DEP_2)
	v_mul_f64 v[1:2], v[5:6], s[0:1]
	v_mul_f64 v[3:4], v[3:4], s[0:1]
	v_add_co_u32 v5, vcc_lo, v13, s3
	v_add_co_ci_u32_e32 v6, vcc_lo, s2, v14, vcc_lo
	s_delay_alu instid0(VALU_DEP_2) | instskip(NEXT) | instid1(VALU_DEP_2)
	v_add_co_u32 v13, vcc_lo, v5, s3
	v_add_co_ci_u32_e32 v14, vcc_lo, s2, v6, vcc_lo
	global_store_b128 v[5:6], v[1:4], off
	global_load_b128 v[1:4], v[15:16], off offset:1168
	s_waitcnt vmcnt(0) lgkmcnt(0)
	v_mul_f64 v[7:8], v[11:12], v[3:4]
	v_mul_f64 v[3:4], v[9:10], v[3:4]
	s_delay_alu instid0(VALU_DEP_2) | instskip(NEXT) | instid1(VALU_DEP_2)
	v_fma_f64 v[7:8], v[9:10], v[1:2], v[7:8]
	v_fma_f64 v[3:4], v[1:2], v[11:12], -v[3:4]
	s_delay_alu instid0(VALU_DEP_2) | instskip(NEXT) | instid1(VALU_DEP_2)
	v_mul_f64 v[1:2], v[7:8], s[0:1]
	v_mul_f64 v[3:4], v[3:4], s[0:1]
	global_store_b128 v[13:14], v[1:4], off
	global_load_b128 v[1:4], v[15:16], off offset:1888
	ds_load_b128 v[5:8], v0 offset:10080
	ds_load_b128 v[9:12], v0 offset:10800
	s_waitcnt vmcnt(0) lgkmcnt(1)
	v_mul_f64 v[17:18], v[7:8], v[3:4]
	v_mul_f64 v[3:4], v[5:6], v[3:4]
	s_delay_alu instid0(VALU_DEP_2) | instskip(NEXT) | instid1(VALU_DEP_2)
	v_fma_f64 v[5:6], v[5:6], v[1:2], v[17:18]
	v_fma_f64 v[3:4], v[1:2], v[7:8], -v[3:4]
	s_delay_alu instid0(VALU_DEP_2) | instskip(NEXT) | instid1(VALU_DEP_2)
	v_mul_f64 v[1:2], v[5:6], s[0:1]
	v_mul_f64 v[3:4], v[3:4], s[0:1]
	v_add_co_u32 v5, vcc_lo, v13, s3
	v_add_co_ci_u32_e32 v6, vcc_lo, s2, v14, vcc_lo
	global_store_b128 v[5:6], v[1:4], off
	global_load_b128 v[1:4], v[15:16], off offset:2608
	s_waitcnt vmcnt(0) lgkmcnt(0)
	v_mul_f64 v[7:8], v[11:12], v[3:4]
	v_mul_f64 v[3:4], v[9:10], v[3:4]
	s_delay_alu instid0(VALU_DEP_2) | instskip(NEXT) | instid1(VALU_DEP_2)
	v_fma_f64 v[7:8], v[9:10], v[1:2], v[7:8]
	v_fma_f64 v[3:4], v[1:2], v[11:12], -v[3:4]
	v_add_co_u32 v9, vcc_lo, v5, s3
	v_add_co_ci_u32_e32 v10, vcc_lo, s2, v6, vcc_lo
	s_delay_alu instid0(VALU_DEP_4) | instskip(NEXT) | instid1(VALU_DEP_4)
	v_mul_f64 v[1:2], v[7:8], s[0:1]
	v_mul_f64 v[3:4], v[3:4], s[0:1]
	ds_load_b128 v[5:8], v0 offset:11520
	global_store_b128 v[9:10], v[1:4], off
	global_load_b128 v[1:4], v[15:16], off offset:3328
	s_waitcnt vmcnt(0) lgkmcnt(0)
	v_mul_f64 v[11:12], v[7:8], v[3:4]
	v_mul_f64 v[3:4], v[5:6], v[3:4]
	s_delay_alu instid0(VALU_DEP_2) | instskip(NEXT) | instid1(VALU_DEP_2)
	v_fma_f64 v[5:6], v[5:6], v[1:2], v[11:12]
	v_fma_f64 v[2:3], v[1:2], v[7:8], -v[3:4]
	v_add_co_u32 v4, vcc_lo, v9, s3
	s_delay_alu instid0(VALU_DEP_3) | instskip(NEXT) | instid1(VALU_DEP_3)
	v_mul_f64 v[0:1], v[5:6], s[0:1]
	v_mul_f64 v[2:3], v[2:3], s[0:1]
	v_add_co_ci_u32_e32 v5, vcc_lo, s2, v10, vcc_lo
	global_store_b128 v[4:5], v[0:3], off
.LBB0_15:
	s_nop 0
	s_sendmsg sendmsg(MSG_DEALLOC_VGPRS)
	s_endpgm
	.section	.rodata,"a",@progbits
	.p2align	6, 0x0
	.amdhsa_kernel bluestein_single_back_len765_dim1_dp_op_CI_CI
		.amdhsa_group_segment_fixed_size 61200
		.amdhsa_private_segment_fixed_size 592
		.amdhsa_kernarg_size 104
		.amdhsa_user_sgpr_count 15
		.amdhsa_user_sgpr_dispatch_ptr 0
		.amdhsa_user_sgpr_queue_ptr 0
		.amdhsa_user_sgpr_kernarg_segment_ptr 1
		.amdhsa_user_sgpr_dispatch_id 0
		.amdhsa_user_sgpr_private_segment_size 0
		.amdhsa_wavefront_size32 1
		.amdhsa_uses_dynamic_stack 0
		.amdhsa_enable_private_segment 1
		.amdhsa_system_sgpr_workgroup_id_x 1
		.amdhsa_system_sgpr_workgroup_id_y 0
		.amdhsa_system_sgpr_workgroup_id_z 0
		.amdhsa_system_sgpr_workgroup_info 0
		.amdhsa_system_vgpr_workitem_id 0
		.amdhsa_next_free_vgpr 256
		.amdhsa_next_free_sgpr 58
		.amdhsa_reserve_vcc 1
		.amdhsa_float_round_mode_32 0
		.amdhsa_float_round_mode_16_64 0
		.amdhsa_float_denorm_mode_32 3
		.amdhsa_float_denorm_mode_16_64 3
		.amdhsa_dx10_clamp 1
		.amdhsa_ieee_mode 1
		.amdhsa_fp16_overflow 0
		.amdhsa_workgroup_processor_mode 1
		.amdhsa_memory_ordered 1
		.amdhsa_forward_progress 0
		.amdhsa_shared_vgpr_count 0
		.amdhsa_exception_fp_ieee_invalid_op 0
		.amdhsa_exception_fp_denorm_src 0
		.amdhsa_exception_fp_ieee_div_zero 0
		.amdhsa_exception_fp_ieee_overflow 0
		.amdhsa_exception_fp_ieee_underflow 0
		.amdhsa_exception_fp_ieee_inexact 0
		.amdhsa_exception_int_div_zero 0
	.end_amdhsa_kernel
	.text
.Lfunc_end0:
	.size	bluestein_single_back_len765_dim1_dp_op_CI_CI, .Lfunc_end0-bluestein_single_back_len765_dim1_dp_op_CI_CI
                                        ; -- End function
	.section	.AMDGPU.csdata,"",@progbits
; Kernel info:
; codeLenInByte = 29664
; NumSgprs: 60
; NumVgprs: 256
; ScratchSize: 592
; MemoryBound: 0
; FloatMode: 240
; IeeeMode: 1
; LDSByteSize: 61200 bytes/workgroup (compile time only)
; SGPRBlocks: 7
; VGPRBlocks: 31
; NumSGPRsForWavesPerEU: 60
; NumVGPRsForWavesPerEU: 256
; Occupancy: 4
; WaveLimiterHint : 1
; COMPUTE_PGM_RSRC2:SCRATCH_EN: 1
; COMPUTE_PGM_RSRC2:USER_SGPR: 15
; COMPUTE_PGM_RSRC2:TRAP_HANDLER: 0
; COMPUTE_PGM_RSRC2:TGID_X_EN: 1
; COMPUTE_PGM_RSRC2:TGID_Y_EN: 0
; COMPUTE_PGM_RSRC2:TGID_Z_EN: 0
; COMPUTE_PGM_RSRC2:TIDIG_COMP_CNT: 0
	.text
	.p2alignl 7, 3214868480
	.fill 96, 4, 3214868480
	.type	__hip_cuid_7947af679a59e364,@object ; @__hip_cuid_7947af679a59e364
	.section	.bss,"aw",@nobits
	.globl	__hip_cuid_7947af679a59e364
__hip_cuid_7947af679a59e364:
	.byte	0                               ; 0x0
	.size	__hip_cuid_7947af679a59e364, 1

	.ident	"AMD clang version 19.0.0git (https://github.com/RadeonOpenCompute/llvm-project roc-6.4.0 25133 c7fe45cf4b819c5991fe208aaa96edf142730f1d)"
	.section	".note.GNU-stack","",@progbits
	.addrsig
	.addrsig_sym __hip_cuid_7947af679a59e364
	.amdgpu_metadata
---
amdhsa.kernels:
  - .args:
      - .actual_access:  read_only
        .address_space:  global
        .offset:         0
        .size:           8
        .value_kind:     global_buffer
      - .actual_access:  read_only
        .address_space:  global
        .offset:         8
        .size:           8
        .value_kind:     global_buffer
      - .actual_access:  read_only
        .address_space:  global
        .offset:         16
        .size:           8
        .value_kind:     global_buffer
      - .actual_access:  read_only
        .address_space:  global
        .offset:         24
        .size:           8
        .value_kind:     global_buffer
      - .actual_access:  read_only
        .address_space:  global
        .offset:         32
        .size:           8
        .value_kind:     global_buffer
      - .offset:         40
        .size:           8
        .value_kind:     by_value
      - .address_space:  global
        .offset:         48
        .size:           8
        .value_kind:     global_buffer
      - .address_space:  global
        .offset:         56
        .size:           8
        .value_kind:     global_buffer
      - .address_space:  global
        .offset:         64
        .size:           8
        .value_kind:     global_buffer
      - .address_space:  global
        .offset:         72
        .size:           8
        .value_kind:     global_buffer
      - .offset:         80
        .size:           4
        .value_kind:     by_value
      - .address_space:  global
        .offset:         88
        .size:           8
        .value_kind:     global_buffer
      - .address_space:  global
        .offset:         96
        .size:           8
        .value_kind:     global_buffer
    .group_segment_fixed_size: 61200
    .kernarg_segment_align: 8
    .kernarg_segment_size: 104
    .language:       OpenCL C
    .language_version:
      - 2
      - 0
    .max_flat_workgroup_size: 255
    .name:           bluestein_single_back_len765_dim1_dp_op_CI_CI
    .private_segment_fixed_size: 592
    .sgpr_count:     60
    .sgpr_spill_count: 0
    .symbol:         bluestein_single_back_len765_dim1_dp_op_CI_CI.kd
    .uniform_work_group_size: 1
    .uses_dynamic_stack: false
    .vgpr_count:     256
    .vgpr_spill_count: 151
    .wavefront_size: 32
    .workgroup_processor_mode: 1
amdhsa.target:   amdgcn-amd-amdhsa--gfx1100
amdhsa.version:
  - 1
  - 2
...

	.end_amdgpu_metadata
